;; amdgpu-corpus repo=ROCm/rocFFT kind=compiled arch=gfx906 opt=O3
	.text
	.amdgcn_target "amdgcn-amd-amdhsa--gfx906"
	.amdhsa_code_object_version 6
	.protected	bluestein_single_back_len1352_dim1_half_op_CI_CI ; -- Begin function bluestein_single_back_len1352_dim1_half_op_CI_CI
	.globl	bluestein_single_back_len1352_dim1_half_op_CI_CI
	.p2align	8
	.type	bluestein_single_back_len1352_dim1_half_op_CI_CI,@function
bluestein_single_back_len1352_dim1_half_op_CI_CI: ; @bluestein_single_back_len1352_dim1_half_op_CI_CI
; %bb.0:
	s_load_dwordx4 s[16:19], s[4:5], 0x28
	v_mul_u32_u24_e32 v1, 0x4ed, v0
	v_add_u32_sdwa v57, s6, v1 dst_sel:DWORD dst_unused:UNUSED_PAD src0_sel:DWORD src1_sel:WORD_1
	v_mov_b32_e32 v58, 0
	s_waitcnt lgkmcnt(0)
	v_cmp_gt_u64_e32 vcc, s[16:17], v[57:58]
	s_and_saveexec_b64 s[0:1], vcc
	s_cbranch_execz .LBB0_10
; %bb.1:
	s_load_dwordx4 s[8:11], s[4:5], 0x18
	s_load_dwordx4 s[12:15], s[4:5], 0x0
	v_mov_b32_e32 v2, 52
	v_mul_lo_u16_sdwa v1, v1, v2 dst_sel:DWORD dst_unused:UNUSED_PAD src0_sel:WORD_1 src1_sel:DWORD
	v_sub_u16_e32 v108, v0, v1
	s_waitcnt lgkmcnt(0)
	s_load_dwordx4 s[0:3], s[8:9], 0x0
	v_lshlrev_b32_e32 v82, 2, v108
	global_load_dword v110, v82, s[12:13]
	v_or_b32_e32 v100, 0x340, v108
	s_load_dwordx4 s[8:11], s[10:11], 0x0
	s_waitcnt lgkmcnt(0)
	v_mad_u64_u32 v[0:1], s[6:7], s2, v57, 0
	v_mad_u64_u32 v[2:3], s[6:7], s0, v108, 0
	s_mul_i32 s7, s1, 0xfffff640
	s_mul_i32 s6, s0, 0xfffff640
	v_mad_u64_u32 v[4:5], s[2:3], s3, v57, v[1:2]
	v_add_u32_e32 v46, 0xa00, v82
	v_add_u32_e32 v56, 0xc00, v82
	v_mad_u64_u32 v[5:6], s[2:3], s1, v108, v[3:4]
	v_mov_b32_e32 v1, v4
	v_lshlrev_b64 v[0:1], 2, v[0:1]
	v_mov_b32_e32 v6, s19
	v_mov_b32_e32 v3, v5
	v_add_co_u32_e32 v7, vcc, s18, v0
	v_addc_co_u32_e32 v6, vcc, v6, v1, vcc
	v_lshlrev_b64 v[0:1], 2, v[2:3]
	s_mul_i32 s2, s1, 0xa90
	v_add_co_u32_e32 v0, vcc, v7, v0
	v_addc_co_u32_e32 v1, vcc, v6, v1, vcc
	global_load_dword v8, v[0:1], off
	s_mul_hi_u32 s3, s0, 0xa90
	s_add_i32 s2, s3, s2
	s_mul_i32 s3, s0, 0xa90
	v_mov_b32_e32 v2, s2
	v_add_co_u32_e32 v0, vcc, s3, v0
	v_addc_co_u32_e32 v1, vcc, v1, v2, vcc
	v_mov_b32_e32 v2, s13
	v_add_co_u32_e32 v10, vcc, s12, v82
	v_addc_co_u32_e32 v11, vcc, 0, v2, vcc
	v_mad_u64_u32 v[2:3], s[16:17], s0, v100, 0
	global_load_dword v9, v[0:1], off
	s_mul_hi_u32 s18, s0, 0xfffff640
	s_sub_i32 s16, s18, s0
	s_add_i32 s7, s16, s7
	v_mad_u64_u32 v[3:4], s[16:17], s1, v100, v[3:4]
	v_mov_b32_e32 v4, s7
	v_add_co_u32_e32 v0, vcc, s6, v0
	v_addc_co_u32_e32 v1, vcc, v1, v4, vcc
	global_load_dword v109, v82, s[12:13] offset:2704
	global_load_dword v106, v82, s[12:13] offset:2912
	;; [unrolled: 1-line block ×10, first 2 shown]
	global_load_dword v15, v[0:1], off
	v_mov_b32_e32 v5, s2
	v_add_co_u32_e32 v0, vcc, s3, v0
	v_addc_co_u32_e32 v1, vcc, v1, v5, vcc
	v_mov_b32_e32 v13, s7
	v_add_co_u32_e32 v4, vcc, s6, v0
	v_addc_co_u32_e32 v5, vcc, v1, v13, vcc
	global_load_dword v13, v[0:1], off
	global_load_dword v16, v[4:5], off
	v_mov_b32_e32 v12, s2
	v_add_co_u32_e32 v0, vcc, s3, v4
	v_addc_co_u32_e32 v1, vcc, v5, v12, vcc
	global_load_dword v4, v[0:1], off
	v_mov_b32_e32 v14, s7
	v_add_co_u32_e32 v0, vcc, s6, v0
	v_addc_co_u32_e32 v1, vcc, v1, v14, vcc
	v_lshlrev_b64 v[2:3], 2, v[2:3]
	global_load_dword v5, v[0:1], off
	v_add_co_u32_e32 v2, vcc, v7, v2
	v_addc_co_u32_e32 v3, vcc, v6, v3, vcc
	v_mov_b32_e32 v6, 0xd0
	v_mad_u64_u32 v[0:1], s[16:17], s0, v6, v[0:1]
	global_load_dword v6, v[2:3], off
	global_load_dword v103, v82, s[12:13] offset:3328
	s_mul_i32 s0, s1, 0xd0
	v_add_u32_e32 v1, s0, v1
	global_load_dword v2, v[0:1], off
	v_mov_b32_e32 v3, s2
	v_add_co_u32_e32 v0, vcc, s3, v0
	v_addc_co_u32_e32 v1, vcc, v1, v3, vcc
	global_load_dword v3, v[0:1], off
	global_load_dword v101, v82, s[12:13] offset:3536
	global_load_dword v91, v82, s[12:13] offset:1664
	;; [unrolled: 1-line block ×6, first 2 shown]
	v_add_co_u32_e32 v0, vcc, s6, v0
	v_mov_b32_e32 v18, s7
	v_add_u32_e32 v58, 0x200, v82
	v_mov_b32_e32 v19, s2
	s_movk_i32 s0, 0x1000
	v_mov_b32_e32 v20, s2
	v_add_u32_e32 v59, 0x400, v82
	v_add_u32_e32 v64, 0x1000, v82
	;; [unrolled: 1-line block ×3, first 2 shown]
	s_waitcnt vmcnt(26)
	v_lshrrev_b32_e32 v12, 16, v8
	v_mul_f16_sdwa v14, v110, v8 dst_sel:DWORD dst_unused:UNUSED_PAD src0_sel:WORD_1 src1_sel:DWORD
	v_mul_f16_sdwa v17, v110, v12 dst_sel:DWORD dst_unused:UNUSED_PAD src0_sel:WORD_1 src1_sel:DWORD
	v_fma_f16 v12, v110, v12, -v14
	v_fma_f16 v8, v110, v8, v17
	v_pack_b32_f16 v8, v8, v12
	v_mov_b32_e32 v12, s7
	v_addc_co_u32_e32 v1, vcc, v1, v12, vcc
	global_load_dword v12, v[0:1], off
	v_mov_b32_e32 v17, s2
	v_add_co_u32_e32 v0, vcc, s3, v0
	v_addc_co_u32_e32 v1, vcc, v1, v17, vcc
	global_load_dword v17, v[0:1], off
	global_load_dword v98, v82, s[12:13] offset:3744
	v_add_co_u32_e32 v0, vcc, s6, v0
	v_addc_co_u32_e32 v1, vcc, v1, v18, vcc
	global_load_dword v18, v[0:1], off
	s_waitcnt vmcnt(29)
	v_lshrrev_b32_e32 v14, 16, v9
	s_waitcnt vmcnt(28)
	v_mul_f16_sdwa v7, v109, v14 dst_sel:DWORD dst_unused:UNUSED_PAD src0_sel:WORD_1 src1_sel:DWORD
	v_fma_f16 v7, v109, v9, v7
	v_mul_f16_sdwa v9, v109, v9 dst_sel:DWORD dst_unused:UNUSED_PAD src0_sel:WORD_1 src1_sel:DWORD
	v_fma_f16 v9, v109, v14, -v9
	v_pack_b32_f16 v7, v7, v9
	ds_write_b32 v82, v7 offset:2704
	s_waitcnt vmcnt(18)
	v_lshrrev_b32_e32 v7, 16, v15
	v_mul_f16_sdwa v9, v107, v7 dst_sel:DWORD dst_unused:UNUSED_PAD src0_sel:WORD_1 src1_sel:DWORD
	v_mul_f16_sdwa v14, v107, v15 dst_sel:DWORD dst_unused:UNUSED_PAD src0_sel:WORD_1 src1_sel:DWORD
	v_fma_f16 v9, v107, v15, v9
	v_fma_f16 v7, v107, v7, -v14
	v_pack_b32_f16 v7, v9, v7
	ds_write2_b32 v82, v8, v7 offset1:52
	v_add_co_u32_e32 v0, vcc, s3, v0
	v_addc_co_u32_e32 v1, vcc, v1, v19, vcc
	s_waitcnt vmcnt(17)
	v_lshrrev_b32_e32 v7, 16, v13
	v_mul_f16_sdwa v8, v106, v7 dst_sel:DWORD dst_unused:UNUSED_PAD src0_sel:WORD_1 src1_sel:DWORD
	v_mul_f16_sdwa v9, v106, v13 dst_sel:DWORD dst_unused:UNUSED_PAD src0_sel:WORD_1 src1_sel:DWORD
	v_fma_f16 v8, v106, v13, v8
	v_fma_f16 v7, v106, v7, -v9
	v_pack_b32_f16 v7, v8, v7
	s_waitcnt vmcnt(16)
	v_lshrrev_b32_e32 v8, 16, v16
	v_mul_f16_sdwa v9, v105, v8 dst_sel:DWORD dst_unused:UNUSED_PAD src0_sel:WORD_1 src1_sel:DWORD
	v_mul_f16_sdwa v13, v105, v16 dst_sel:DWORD dst_unused:UNUSED_PAD src0_sel:WORD_1 src1_sel:DWORD
	v_fma_f16 v9, v105, v16, v9
	v_fma_f16 v8, v105, v8, -v13
	v_pack_b32_f16 v8, v9, v8
	s_waitcnt vmcnt(15)
	v_lshrrev_b32_e32 v9, 16, v4
	v_mul_f16_sdwa v13, v104, v9 dst_sel:DWORD dst_unused:UNUSED_PAD src0_sel:WORD_1 src1_sel:DWORD
	v_fma_f16 v13, v104, v4, v13
	v_mul_f16_sdwa v4, v104, v4 dst_sel:DWORD dst_unused:UNUSED_PAD src0_sel:WORD_1 src1_sel:DWORD
	v_fma_f16 v4, v104, v9, -v4
	v_pack_b32_f16 v4, v13, v4
	ds_write2_b32 v46, v7, v4 offset0:88 offset1:140
	s_waitcnt vmcnt(14)
	v_lshrrev_b32_e32 v4, 16, v5
	v_mul_f16_sdwa v7, v102, v4 dst_sel:DWORD dst_unused:UNUSED_PAD src0_sel:WORD_1 src1_sel:DWORD
	v_fma_f16 v7, v102, v5, v7
	v_mul_f16_sdwa v5, v102, v5 dst_sel:DWORD dst_unused:UNUSED_PAD src0_sel:WORD_1 src1_sel:DWORD
	v_fma_f16 v4, v102, v4, -v5
	v_pack_b32_f16 v4, v7, v4
	ds_write2_b32 v82, v8, v4 offset0:104 offset1:156
	s_waitcnt vmcnt(13)
	v_lshrrev_b32_e32 v4, 16, v6
	s_waitcnt vmcnt(12)
	v_mul_f16_sdwa v5, v103, v4 dst_sel:DWORD dst_unused:UNUSED_PAD src0_sel:WORD_1 src1_sel:DWORD
	v_fma_f16 v5, v103, v6, v5
	v_mul_f16_sdwa v6, v103, v6 dst_sel:DWORD dst_unused:UNUSED_PAD src0_sel:WORD_1 src1_sel:DWORD
	v_fma_f16 v4, v103, v4, -v6
	v_pack_b32_f16 v4, v5, v4
	s_waitcnt vmcnt(11)
	v_lshrrev_b32_e32 v5, 16, v2
	v_mul_f16_sdwa v6, v99, v5 dst_sel:DWORD dst_unused:UNUSED_PAD src0_sel:WORD_1 src1_sel:DWORD
	v_fma_f16 v6, v99, v2, v6
	v_mul_f16_sdwa v2, v99, v2 dst_sel:DWORD dst_unused:UNUSED_PAD src0_sel:WORD_1 src1_sel:DWORD
	v_fma_f16 v2, v99, v5, -v2
	s_waitcnt vmcnt(10)
	v_lshrrev_b32_e32 v5, 16, v3
	v_pack_b32_f16 v2, v6, v2
	s_waitcnt vmcnt(9)
	v_mul_f16_sdwa v6, v101, v5 dst_sel:DWORD dst_unused:UNUSED_PAD src0_sel:WORD_1 src1_sel:DWORD
	v_fma_f16 v6, v101, v3, v6
	v_mul_f16_sdwa v3, v101, v3 dst_sel:DWORD dst_unused:UNUSED_PAD src0_sel:WORD_1 src1_sel:DWORD
	v_fma_f16 v3, v101, v5, -v3
	v_pack_b32_f16 v3, v6, v3
	ds_write2_b32 v56, v4, v3 offset0:64 offset1:116
	global_load_dword v19, v[0:1], off
	global_load_dword v96, v82, s[12:13] offset:3952
	v_add_co_u32_e32 v0, vcc, s6, v0
	v_mov_b32_e32 v9, s7
	s_waitcnt vmcnt(5)
	v_lshrrev_b32_e32 v3, 16, v12
	v_mul_f16_sdwa v4, v97, v3 dst_sel:DWORD dst_unused:UNUSED_PAD src0_sel:WORD_1 src1_sel:DWORD
	v_mul_f16_sdwa v5, v97, v12 dst_sel:DWORD dst_unused:UNUSED_PAD src0_sel:WORD_1 src1_sel:DWORD
	v_fma_f16 v4, v97, v12, v4
	v_fma_f16 v3, v97, v3, -v5
	v_pack_b32_f16 v3, v4, v3
	ds_write2_b32 v58, v2, v3 offset0:80 offset1:132
	s_waitcnt vmcnt(4)
	v_lshrrev_b32_e32 v2, 16, v17
	s_waitcnt vmcnt(3)
	v_mul_f16_sdwa v3, v98, v2 dst_sel:DWORD dst_unused:UNUSED_PAD src0_sel:WORD_1 src1_sel:DWORD
	v_mul_f16_sdwa v4, v98, v17 dst_sel:DWORD dst_unused:UNUSED_PAD src0_sel:WORD_1 src1_sel:DWORD
	v_fma_f16 v3, v98, v17, v3
	v_fma_f16 v2, v98, v2, -v4
	v_pack_b32_f16 v4, v3, v2
	s_waitcnt vmcnt(2)
	v_lshrrev_b32_e32 v2, 16, v18
	v_mul_f16_sdwa v3, v94, v2 dst_sel:DWORD dst_unused:UNUSED_PAD src0_sel:WORD_1 src1_sel:DWORD
	v_mul_f16_sdwa v5, v94, v18 dst_sel:DWORD dst_unused:UNUSED_PAD src0_sel:WORD_1 src1_sel:DWORD
	v_fma_f16 v3, v94, v18, v3
	v_fma_f16 v2, v94, v2, -v5
	v_pack_b32_f16 v5, v3, v2
	v_mov_b32_e32 v2, s7
	v_addc_co_u32_e32 v1, vcc, v1, v2, vcc
	global_load_dword v7, v[0:1], off
	v_mov_b32_e32 v2, s2
	v_add_co_u32_e32 v0, vcc, s3, v0
	v_addc_co_u32_e32 v1, vcc, v1, v2, vcc
	v_add_co_u32_e32 v2, vcc, s0, v10
	global_load_dword v8, v[0:1], off
	v_addc_co_u32_e32 v3, vcc, 0, v11, vcc
	global_load_dword v95, v[2:3], off offset:64
	v_add_co_u32_e32 v0, vcc, s6, v0
	v_addc_co_u32_e32 v1, vcc, v1, v9, vcc
	global_load_dword v9, v[0:1], off
	v_mov_b32_e32 v10, s2
	v_add_co_u32_e32 v0, vcc, s3, v0
	v_addc_co_u32_e32 v1, vcc, v1, v10, vcc
	global_load_dword v10, v[0:1], off
	global_load_dword v92, v[2:3], off offset:272
	v_mov_b32_e32 v12, s7
	v_add_co_u32_e32 v0, vcc, s6, v0
	v_addc_co_u32_e32 v1, vcc, v1, v12, vcc
	global_load_dword v12, v[0:1], off
	v_mov_b32_e32 v13, s2
	v_add_co_u32_e32 v0, vcc, s3, v0
	v_addc_co_u32_e32 v1, vcc, v1, v13, vcc
	global_load_dword v13, v[0:1], off
	global_load_dword v90, v[2:3], off offset:480
	v_mov_b32_e32 v14, s7
	;; [unrolled: 9-line block ×4, first 2 shown]
	v_add_co_u32_e32 v0, vcc, s6, v0
	v_addc_co_u32_e32 v1, vcc, v1, v18, vcc
	global_load_dword v18, v[0:1], off
	v_add_co_u32_e32 v0, vcc, s3, v0
	v_addc_co_u32_e32 v1, vcc, v1, v20, vcc
	global_load_dword v20, v[0:1], off
	global_load_dword v84, v[2:3], off offset:1104
	s_waitcnt vmcnt(19)
	v_lshrrev_b32_e32 v6, 16, v19
	s_waitcnt vmcnt(18)
	v_mul_f16_sdwa v11, v96, v6 dst_sel:DWORD dst_unused:UNUSED_PAD src0_sel:WORD_1 src1_sel:DWORD
	v_fma_f16 v11, v96, v19, v11
	v_mul_f16_sdwa v19, v96, v19 dst_sel:DWORD dst_unused:UNUSED_PAD src0_sel:WORD_1 src1_sel:DWORD
	v_fma_f16 v0, v96, v6, -v19
	v_pack_b32_f16 v0, v11, v0
	ds_write2_b32 v56, v4, v0 offset0:168 offset1:220
	v_add_u32_e32 v30, 0x1200, v82
	v_add_co_u32_e32 v22, vcc, 52, v108
	s_waitcnt vmcnt(17)
	v_lshrrev_b32_e32 v0, 16, v7
	v_mul_f16_sdwa v1, v93, v0 dst_sel:DWORD dst_unused:UNUSED_PAD src0_sel:WORD_1 src1_sel:DWORD
	v_mul_f16_sdwa v2, v93, v7 dst_sel:DWORD dst_unused:UNUSED_PAD src0_sel:WORD_1 src1_sel:DWORD
	v_fma_f16 v1, v93, v7, v1
	v_fma_f16 v0, v93, v0, -v2
	v_pack_b32_f16 v0, v1, v0
	ds_write2_b32 v59, v5, v0 offset0:56 offset1:108
	v_lshlrev_b32_e32 v112, 3, v22
	s_waitcnt vmcnt(16)
	v_lshrrev_b32_e32 v0, 16, v8
	v_lshlrev_b32_e32 v113, 3, v108
	s_movk_i32 s7, 0x3b15
	s_waitcnt vmcnt(15)
	v_mul_f16_sdwa v1, v95, v0 dst_sel:DWORD dst_unused:UNUSED_PAD src0_sel:WORD_1 src1_sel:DWORD
	v_mul_f16_sdwa v2, v95, v8 dst_sel:DWORD dst_unused:UNUSED_PAD src0_sel:WORD_1 src1_sel:DWORD
	v_fma_f16 v1, v95, v8, v1
	v_fma_f16 v0, v95, v0, -v2
	v_pack_b32_f16 v0, v1, v0
	s_waitcnt vmcnt(14)
	v_lshrrev_b32_e32 v1, 16, v9
	v_mul_f16_sdwa v2, v91, v1 dst_sel:DWORD dst_unused:UNUSED_PAD src0_sel:WORD_1 src1_sel:DWORD
	v_mul_f16_sdwa v3, v91, v9 dst_sel:DWORD dst_unused:UNUSED_PAD src0_sel:WORD_1 src1_sel:DWORD
	v_fma_f16 v2, v91, v9, v2
	v_fma_f16 v1, v91, v1, -v3
	v_pack_b32_f16 v1, v2, v1
	s_waitcnt vmcnt(13)
	v_lshrrev_b32_e32 v2, 16, v10
	s_waitcnt vmcnt(12)
	v_mul_f16_sdwa v3, v92, v2 dst_sel:DWORD dst_unused:UNUSED_PAD src0_sel:WORD_1 src1_sel:DWORD
	v_mul_f16_sdwa v4, v92, v10 dst_sel:DWORD dst_unused:UNUSED_PAD src0_sel:WORD_1 src1_sel:DWORD
	v_fma_f16 v3, v92, v10, v3
	v_fma_f16 v2, v92, v2, -v4
	v_pack_b32_f16 v2, v3, v2
	ds_write2_b32 v64, v0, v2 offset0:16 offset1:68
	s_waitcnt vmcnt(11)
	v_lshrrev_b32_e32 v0, 16, v12
	v_mul_f16_sdwa v2, v89, v0 dst_sel:DWORD dst_unused:UNUSED_PAD src0_sel:WORD_1 src1_sel:DWORD
	v_mul_f16_sdwa v3, v89, v12 dst_sel:DWORD dst_unused:UNUSED_PAD src0_sel:WORD_1 src1_sel:DWORD
	v_fma_f16 v2, v89, v12, v2
	v_fma_f16 v0, v89, v0, -v3
	v_pack_b32_f16 v0, v2, v0
	ds_write2_b32 v59, v1, v0 offset0:160 offset1:212
	s_waitcnt vmcnt(10)
	v_lshrrev_b32_e32 v0, 16, v13
	s_waitcnt vmcnt(9)
	v_mul_f16_sdwa v1, v90, v0 dst_sel:DWORD dst_unused:UNUSED_PAD src0_sel:WORD_1 src1_sel:DWORD
	v_mul_f16_sdwa v2, v90, v13 dst_sel:DWORD dst_unused:UNUSED_PAD src0_sel:WORD_1 src1_sel:DWORD
	v_fma_f16 v1, v90, v13, v1
	v_fma_f16 v0, v90, v0, -v2
	v_pack_b32_f16 v0, v1, v0
	s_waitcnt vmcnt(8)
	v_lshrrev_b32_e32 v1, 16, v14
	v_mul_f16_sdwa v2, v87, v1 dst_sel:DWORD dst_unused:UNUSED_PAD src0_sel:WORD_1 src1_sel:DWORD
	v_mul_f16_sdwa v3, v87, v14 dst_sel:DWORD dst_unused:UNUSED_PAD src0_sel:WORD_1 src1_sel:DWORD
	v_fma_f16 v2, v87, v14, v2
	v_fma_f16 v1, v87, v1, -v3
	v_pack_b32_f16 v1, v2, v1
	s_waitcnt vmcnt(7)
	v_lshrrev_b32_e32 v2, 16, v15
	s_waitcnt vmcnt(6)
	v_mul_f16_sdwa v3, v88, v2 dst_sel:DWORD dst_unused:UNUSED_PAD src0_sel:WORD_1 src1_sel:DWORD
	v_mul_f16_sdwa v4, v88, v15 dst_sel:DWORD dst_unused:UNUSED_PAD src0_sel:WORD_1 src1_sel:DWORD
	v_fma_f16 v3, v88, v15, v3
	v_fma_f16 v2, v88, v2, -v4
	v_pack_b32_f16 v2, v3, v2
	ds_write2_b32 v64, v0, v2 offset0:120 offset1:172
	s_waitcnt vmcnt(5)
	v_lshrrev_b32_e32 v0, 16, v16
	v_mul_f16_sdwa v2, v85, v0 dst_sel:DWORD dst_unused:UNUSED_PAD src0_sel:WORD_1 src1_sel:DWORD
	v_mul_f16_sdwa v3, v85, v16 dst_sel:DWORD dst_unused:UNUSED_PAD src0_sel:WORD_1 src1_sel:DWORD
	v_fma_f16 v2, v85, v16, v2
	v_fma_f16 v0, v85, v0, -v3
	v_pack_b32_f16 v0, v2, v0
	ds_write2_b32 v65, v1, v0 offset0:8 offset1:60
	s_waitcnt vmcnt(4)
	v_lshrrev_b32_e32 v0, 16, v17
	s_waitcnt vmcnt(3)
	v_mul_f16_sdwa v1, v86, v0 dst_sel:DWORD dst_unused:UNUSED_PAD src0_sel:WORD_1 src1_sel:DWORD
	v_mul_f16_sdwa v2, v86, v17 dst_sel:DWORD dst_unused:UNUSED_PAD src0_sel:WORD_1 src1_sel:DWORD
	v_fma_f16 v1, v86, v17, v1
	v_fma_f16 v0, v86, v0, -v2
	v_pack_b32_f16 v0, v1, v0
	s_waitcnt vmcnt(2)
	v_lshrrev_b32_e32 v1, 16, v18
	v_mul_f16_sdwa v2, v83, v1 dst_sel:DWORD dst_unused:UNUSED_PAD src0_sel:WORD_1 src1_sel:DWORD
	v_mul_f16_sdwa v3, v83, v18 dst_sel:DWORD dst_unused:UNUSED_PAD src0_sel:WORD_1 src1_sel:DWORD
	v_fma_f16 v2, v83, v18, v2
	v_fma_f16 v1, v83, v1, -v3
	v_pack_b32_f16 v1, v2, v1
	ds_write_b32 v82, v1 offset:2496
	s_waitcnt vmcnt(1)
	v_lshrrev_b32_e32 v1, 16, v20
	s_waitcnt vmcnt(0)
	v_mul_f16_sdwa v2, v84, v1 dst_sel:DWORD dst_unused:UNUSED_PAD src0_sel:WORD_1 src1_sel:DWORD
	v_mul_f16_sdwa v3, v84, v20 dst_sel:DWORD dst_unused:UNUSED_PAD src0_sel:WORD_1 src1_sel:DWORD
	v_fma_f16 v2, v84, v20, v2
	v_fma_f16 v1, v84, v1, -v3
	v_pack_b32_f16 v1, v2, v1
	ds_write2_b32 v30, v0, v1 offset0:96 offset1:148
	s_waitcnt lgkmcnt(0)
	; wave barrier
	s_waitcnt lgkmcnt(0)
	ds_read2_b32 v[0:1], v82 offset1:52
	ds_read2_b32 v[2:3], v82 offset0:104 offset1:156
	ds_read2_b32 v[4:5], v65 offset0:112 offset1:164
	;; [unrolled: 1-line block ×8, first 2 shown]
	s_waitcnt lgkmcnt(8)
	v_lshrrev_b32_e32 v27, 16, v0
	ds_read2_b32 v[18:19], v65 offset0:8 offset1:60
	ds_read2_b32 v[20:21], v64 offset0:16 offset1:68
	v_lshrrev_b32_e32 v28, 16, v1
	ds_read2_b32 v[23:24], v64 offset0:120 offset1:172
	s_waitcnt lgkmcnt(9)
	v_sub_f16_e32 v41, v0, v5
	v_sub_f16_sdwa v5, v27, v5 dst_sel:DWORD dst_unused:UNUSED_PAD src0_sel:DWORD src1_sel:WORD_1
	s_waitcnt lgkmcnt(8)
	v_sub_f16_e32 v42, v1, v6
	v_lshrrev_b32_e32 v29, 16, v2
	v_lshrrev_b32_e32 v31, 16, v3
	ds_read2_b32 v[25:26], v30 offset0:96 offset1:148
	v_fma_f16 v0, v0, 2.0, -v41
	v_fma_f16 v27, v27, 2.0, -v5
	v_sub_f16_sdwa v6, v28, v6 dst_sel:DWORD dst_unused:UNUSED_PAD src0_sel:DWORD src1_sel:WORD_1
	v_fma_f16 v43, v1, 2.0, -v42
	v_lshlrev_b16_e32 v1, 1, v108
	s_waitcnt lgkmcnt(8)
	v_lshrrev_b32_e32 v32, 16, v8
	v_lshrrev_b32_e32 v33, 16, v9
	v_fma_f16 v28, v28, 2.0, -v6
	v_sub_f16_e32 v44, v2, v7
	v_sub_f16_sdwa v7, v29, v7 dst_sel:DWORD dst_unused:UNUSED_PAD src0_sel:DWORD src1_sel:WORD_1
	s_waitcnt lgkmcnt(7)
	v_sub_f16_e32 v45, v3, v10
	v_sub_f16_sdwa v10, v31, v10 dst_sel:DWORD dst_unused:UNUSED_PAD src0_sel:DWORD src1_sel:WORD_1
	v_lshlrev_b32_e32 v111, 2, v1
	v_pack_b32_f16 v1, v41, v5
	v_pack_b32_f16 v0, v0, v27
	s_waitcnt lgkmcnt(6)
	v_lshrrev_b32_e32 v34, 16, v12
	v_lshrrev_b32_e32 v35, 16, v13
	v_fma_f16 v2, v2, 2.0, -v44
	v_fma_f16 v29, v29, 2.0, -v7
	;; [unrolled: 1-line block ×4, first 2 shown]
	v_sub_f16_e32 v48, v8, v11
	v_sub_f16_sdwa v11, v32, v11 dst_sel:DWORD dst_unused:UNUSED_PAD src0_sel:DWORD src1_sel:WORD_1
	s_waitcnt lgkmcnt(5)
	v_sub_f16_e32 v49, v9, v14
	v_sub_f16_sdwa v14, v33, v14 dst_sel:DWORD dst_unused:UNUSED_PAD src0_sel:DWORD src1_sel:WORD_1
	s_waitcnt lgkmcnt(0)
	; wave barrier
	s_waitcnt lgkmcnt(0)
	ds_write_b64 v111, v[0:1]
	v_pack_b32_f16 v1, v42, v6
	v_pack_b32_f16 v0, v43, v28
	v_lshrrev_b32_e32 v36, 16, v16
	v_lshrrev_b32_e32 v37, 16, v17
	v_fma_f16 v8, v8, 2.0, -v48
	v_fma_f16 v32, v32, 2.0, -v11
	;; [unrolled: 1-line block ×4, first 2 shown]
	v_sub_f16_e32 v50, v12, v15
	v_sub_f16_sdwa v15, v34, v15 dst_sel:DWORD dst_unused:UNUSED_PAD src0_sel:DWORD src1_sel:WORD_1
	v_sub_f16_e32 v51, v13, v20
	v_sub_f16_sdwa v20, v35, v20 dst_sel:DWORD dst_unused:UNUSED_PAD src0_sel:DWORD src1_sel:WORD_1
	ds_write_b64 v112, v[0:1]
	v_pack_b32_f16 v1, v44, v7
	v_pack_b32_f16 v0, v2, v29
	;; [unrolled: 1-line block ×4, first 2 shown]
	v_lshrrev_b32_e32 v38, 16, v18
	v_lshrrev_b32_e32 v39, 16, v19
	v_fma_f16 v12, v12, 2.0, -v50
	v_fma_f16 v34, v34, 2.0, -v15
	v_fma_f16 v13, v13, 2.0, -v51
	v_fma_f16 v35, v35, 2.0, -v20
	v_sub_f16_e32 v52, v16, v21
	v_sub_f16_sdwa v21, v36, v21 dst_sel:DWORD dst_unused:UNUSED_PAD src0_sel:DWORD src1_sel:WORD_1
	v_sub_f16_e32 v53, v17, v23
	v_sub_f16_sdwa v23, v37, v23 dst_sel:DWORD dst_unused:UNUSED_PAD src0_sel:DWORD src1_sel:WORD_1
	ds_write2_b64 v113, v[0:1], v[2:3] offset0:104 offset1:156
	v_pack_b32_f16 v1, v48, v11
	v_pack_b32_f16 v0, v8, v32
	;; [unrolled: 1-line block ×4, first 2 shown]
	v_add_u32_e32 v5, 0x400, v113
	v_lshrrev_b32_e32 v40, 16, v4
	v_fma_f16 v16, v16, 2.0, -v52
	v_fma_f16 v36, v36, 2.0, -v21
	;; [unrolled: 1-line block ×4, first 2 shown]
	v_sub_f16_e32 v54, v18, v24
	v_sub_f16_sdwa v24, v38, v24 dst_sel:DWORD dst_unused:UNUSED_PAD src0_sel:DWORD src1_sel:WORD_1
	v_sub_f16_e32 v55, v19, v25
	v_sub_f16_sdwa v25, v39, v25 dst_sel:DWORD dst_unused:UNUSED_PAD src0_sel:DWORD src1_sel:WORD_1
	ds_write2_b64 v5, v[0:1], v[2:3] offset0:80 offset1:132
	v_pack_b32_f16 v1, v50, v15
	v_pack_b32_f16 v0, v12, v34
	v_pack_b32_f16 v3, v51, v20
	v_pack_b32_f16 v2, v13, v35
	v_add_u32_e32 v5, 0x800, v113
	v_fma_f16 v18, v18, 2.0, -v54
	v_fma_f16 v38, v38, 2.0, -v24
	;; [unrolled: 1-line block ×4, first 2 shown]
	v_sub_f16_e32 v60, v4, v26
	v_sub_f16_sdwa v26, v40, v26 dst_sel:DWORD dst_unused:UNUSED_PAD src0_sel:DWORD src1_sel:WORD_1
	ds_write2_b64 v5, v[0:1], v[2:3] offset0:56 offset1:108
	v_pack_b32_f16 v1, v52, v21
	v_pack_b32_f16 v0, v16, v36
	;; [unrolled: 1-line block ×4, first 2 shown]
	v_fma_f16 v4, v4, 2.0, -v60
	v_fma_f16 v40, v40, 2.0, -v26
	ds_write2_b64 v5, v[0:1], v[2:3] offset0:160 offset1:212
	v_pack_b32_f16 v1, v54, v24
	v_pack_b32_f16 v0, v18, v38
	;; [unrolled: 1-line block ×4, first 2 shown]
	v_add_u32_e32 v5, 0x1000, v113
	ds_write2_b64 v5, v[0:1], v[2:3] offset0:8 offset1:60
	v_pack_b32_f16 v1, v60, v26
	v_pack_b32_f16 v0, v4, v40
	v_and_b32_e32 v23, 1, v108
	ds_write_b64 v113, v[0:1] offset:4992
	v_mul_u32_u24_e32 v0, 12, v23
	v_lshlrev_b32_e32 v8, 2, v0
	s_waitcnt lgkmcnt(0)
	; wave barrier
	s_waitcnt lgkmcnt(0)
	global_load_dwordx4 v[0:3], v8, s[14:15]
	global_load_dwordx4 v[4:7], v8, s[14:15] offset:32
	ds_read2_b32 v[18:19], v82 offset0:104 offset1:156
	ds_read2_b32 v[14:15], v58 offset0:80 offset1:132
	;; [unrolled: 1-line block ×4, first 2 shown]
	ds_read2_b32 v[16:17], v82 offset1:52
	global_load_dwordx4 v[8:11], v8, s[14:15] offset:16
	s_waitcnt lgkmcnt(4)
	v_lshrrev_b32_e32 v28, 16, v18
	v_lshrrev_b32_e32 v27, 16, v19
	s_waitcnt lgkmcnt(1)
	v_lshrrev_b32_e32 v29, 16, v20
	v_lshrrev_b32_e32 v26, 16, v21
	s_movk_i32 s3, 0x388b
	s_movk_i32 s2, 0x2fb7
	s_mov_b32 s6, 0xb5ac
	s_mov_b32 s16, 0xb9fd
	s_mov_b32 s17, 0xbbc4
	v_lshrrev_b32_e32 v25, 16, v14
	v_lshrrev_b32_e32 v120, 16, v15
	;; [unrolled: 1-line block ×3, first 2 shown]
	s_movk_i32 s0, 0xffe6
	s_movk_i32 s18, 0x4f
	s_waitcnt vmcnt(2)
	v_mul_f16_sdwa v31, v28, v0 dst_sel:DWORD dst_unused:UNUSED_PAD src0_sel:DWORD src1_sel:WORD_1
	v_fma_f16 v31, v18, v0, -v31
	v_mul_f16_sdwa v18, v18, v0 dst_sel:DWORD dst_unused:UNUSED_PAD src0_sel:DWORD src1_sel:WORD_1
	v_fma_f16 v18, v28, v0, v18
	s_waitcnt vmcnt(1)
	v_mul_f16_sdwa v28, v29, v7 dst_sel:DWORD dst_unused:UNUSED_PAD src0_sel:DWORD src1_sel:WORD_1
	v_fma_f16 v68, v20, v7, -v28
	v_mul_f16_sdwa v20, v20, v7 dst_sel:DWORD dst_unused:UNUSED_PAD src0_sel:DWORD src1_sel:WORD_1
	v_fma_f16 v69, v29, v7, v20
	v_mul_f16_sdwa v20, v27, v0 dst_sel:DWORD dst_unused:UNUSED_PAD src0_sel:DWORD src1_sel:WORD_1
	v_fma_f16 v28, v19, v0, -v20
	v_mul_f16_sdwa v19, v19, v0 dst_sel:DWORD dst_unused:UNUSED_PAD src0_sel:DWORD src1_sel:WORD_1
	v_mul_f16_sdwa v20, v26, v7 dst_sel:DWORD dst_unused:UNUSED_PAD src0_sel:DWORD src1_sel:WORD_1
	v_fma_f16 v19, v27, v0, v19
	v_fma_f16 v27, v21, v7, -v20
	v_mul_f16_sdwa v20, v21, v7 dst_sel:DWORD dst_unused:UNUSED_PAD src0_sel:DWORD src1_sel:WORD_1
	v_fma_f16 v20, v26, v7, v20
	v_sub_f16_e32 v29, v31, v68
	v_sub_f16_e32 v32, v18, v69
	v_add_f16_e32 v21, v31, v68
	v_add_f16_e32 v26, v18, v69
	v_mul_f16_e32 v33, 0xb770, v32
	v_mul_f16_e32 v35, 0xb770, v29
	;; [unrolled: 1-line block ×12, first 2 shown]
	v_sub_f16_e32 v61, v19, v20
	v_fma_f16 v34, v21, s7, -v33
	v_fma_f16 v36, v26, s7, v35
	v_fma_f16 v33, v21, s7, v33
	v_fma_f16 v35, v26, s7, -v35
	v_fma_f16 v38, v21, s3, -v37
	v_fma_f16 v40, v26, s3, v39
	v_fma_f16 v37, v21, s3, v37
	v_fma_f16 v39, v26, s3, -v39
	;; [unrolled: 4-line block ×6, first 2 shown]
	v_add_f16_e32 v29, v28, v27
	v_mul_f16_e32 v70, 0xba95, v61
	v_sub_f16_e32 v60, v28, v27
	v_fma_f16 v71, v29, s3, -v70
	v_fma_f16 v70, v29, s3, v70
	s_waitcnt lgkmcnt(0)
	v_add_f16_e32 v121, v16, v31
	v_add_f16_sdwa v122, v16, v18 dst_sel:DWORD dst_unused:UNUSED_PAD src0_sel:WORD_1 src1_sel:DWORD
	v_add_f16_e32 v123, v16, v34
	v_add_f16_sdwa v124, v16, v36 dst_sel:DWORD dst_unused:UNUSED_PAD src0_sel:WORD_1 src1_sel:DWORD
	v_add_f16_e32 v125, v16, v33
	v_add_f16_sdwa v126, v16, v35 dst_sel:DWORD dst_unused:UNUSED_PAD src0_sel:WORD_1 src1_sel:DWORD
	v_add_f16_e32 v127, v16, v38
	v_add_f16_sdwa v128, v16, v40 dst_sel:DWORD dst_unused:UNUSED_PAD src0_sel:WORD_1 src1_sel:DWORD
	v_add_f16_e32 v129, v16, v37
	v_add_f16_sdwa v130, v16, v39 dst_sel:DWORD dst_unused:UNUSED_PAD src0_sel:WORD_1 src1_sel:DWORD
	v_add_f16_e32 v131, v16, v42
	v_add_f16_sdwa v132, v16, v44 dst_sel:DWORD dst_unused:UNUSED_PAD src0_sel:WORD_1 src1_sel:DWORD
	v_add_f16_e32 v133, v16, v41
	v_add_f16_sdwa v134, v16, v43 dst_sel:DWORD dst_unused:UNUSED_PAD src0_sel:WORD_1 src1_sel:DWORD
	v_add_f16_e32 v135, v16, v47
	v_add_f16_sdwa v136, v16, v49 dst_sel:DWORD dst_unused:UNUSED_PAD src0_sel:WORD_1 src1_sel:DWORD
	v_add_f16_e32 v137, v16, v45
	v_add_f16_sdwa v138, v16, v48 dst_sel:DWORD dst_unused:UNUSED_PAD src0_sel:WORD_1 src1_sel:DWORD
	v_add_f16_e32 v139, v16, v51
	v_add_f16_sdwa v140, v16, v53 dst_sel:DWORD dst_unused:UNUSED_PAD src0_sel:WORD_1 src1_sel:DWORD
	v_add_f16_e32 v141, v16, v50
	v_add_f16_sdwa v142, v16, v52 dst_sel:DWORD dst_unused:UNUSED_PAD src0_sel:WORD_1 src1_sel:DWORD
	v_add_f16_e32 v143, v16, v54
	v_add_f16_sdwa v144, v16, v55 dst_sel:DWORD dst_unused:UNUSED_PAD src0_sel:WORD_1 src1_sel:DWORD
	v_add_f16_e32 v145, v16, v21
	v_add_f16_sdwa v146, v16, v26 dst_sel:DWORD dst_unused:UNUSED_PAD src0_sel:WORD_1 src1_sel:DWORD
	v_mul_f16_sdwa v16, v25, v1 dst_sel:DWORD dst_unused:UNUSED_PAD src0_sel:DWORD src1_sel:WORD_1
	v_add_f16_e32 v32, v19, v20
	v_mul_f16_e32 v72, 0xba95, v60
	v_add_f16_e32 v49, v17, v70
	v_fma_f16 v70, v14, v1, -v16
	v_mul_f16_sdwa v14, v14, v1 dst_sel:DWORD dst_unused:UNUSED_PAD src0_sel:DWORD src1_sel:WORD_1
	v_fma_f16 v73, v32, s3, v72
	v_fma_f16 v72, v32, s3, -v72
	v_add_f16_e32 v51, v17, v71
	v_fma_f16 v71, v25, v1, v14
	v_mul_f16_sdwa v14, v120, v1 dst_sel:DWORD dst_unused:UNUSED_PAD src0_sel:DWORD src1_sel:WORD_1
	v_mul_f16_e32 v74, 0xbbf1, v61
	v_add_f16_sdwa v48, v17, v72 dst_sel:DWORD dst_unused:UNUSED_PAD src0_sel:WORD_1 src1_sel:DWORD
	v_fma_f16 v72, v15, v1, -v14
	v_mul_f16_sdwa v14, v15, v1 dst_sel:DWORD dst_unused:UNUSED_PAD src0_sel:DWORD src1_sel:WORD_1
	v_fma_f16 v75, v29, s2, -v74
	v_fma_f16 v74, v29, s2, v74
	v_add_f16_sdwa v50, v17, v73 dst_sel:DWORD dst_unused:UNUSED_PAD src0_sel:WORD_1 src1_sel:DWORD
	v_fma_f16 v73, v120, v1, v14
	v_mul_f16_sdwa v14, v12, v2 dst_sel:DWORD dst_unused:UNUSED_PAD src0_sel:DWORD src1_sel:WORD_1
	v_add_f16_e32 v44, v17, v74
	v_fma_f16 v74, v24, v2, v14
	v_mul_f16_sdwa v14, v24, v2 dst_sel:DWORD dst_unused:UNUSED_PAD src0_sel:DWORD src1_sel:WORD_1
	v_add_f16_e32 v47, v17, v75
	v_fma_f16 v75, v12, v2, -v14
	ds_read2_b32 v[14:15], v59 offset0:160 offset1:212
	v_lshrrev_b32_e32 v16, 16, v13
	v_mul_f16_sdwa v12, v16, v2 dst_sel:DWORD dst_unused:UNUSED_PAD src0_sel:DWORD src1_sel:WORD_1
	v_mul_f16_e32 v76, 0xbbf1, v60
	v_fma_f16 v38, v13, v2, -v12
	v_mul_f16_sdwa v12, v13, v2 dst_sel:DWORD dst_unused:UNUSED_PAD src0_sel:DWORD src1_sel:WORD_1
	v_fma_f16 v77, v32, s2, v76
	v_fma_f16 v76, v32, s2, -v76
	v_fma_f16 v39, v16, v2, v12
	s_waitcnt lgkmcnt(0)
	v_lshrrev_b32_e32 v12, 16, v14
	v_mul_f16_sdwa v13, v14, v3 dst_sel:DWORD dst_unused:UNUSED_PAD src0_sel:DWORD src1_sel:WORD_1
	v_add_f16_sdwa v43, v17, v76 dst_sel:DWORD dst_unused:UNUSED_PAD src0_sel:WORD_1 src1_sel:DWORD
	v_fma_f16 v76, v12, v3, v13
	v_mul_f16_sdwa v12, v12, v3 dst_sel:DWORD dst_unused:UNUSED_PAD src0_sel:DWORD src1_sel:WORD_1
	v_add_f16_sdwa v45, v17, v77 dst_sel:DWORD dst_unused:UNUSED_PAD src0_sel:WORD_1 src1_sel:DWORD
	v_fma_f16 v77, v14, v3, -v12
	ds_read2_b32 v[12:13], v65 offset0:8 offset1:60
	v_lshrrev_b32_e32 v14, 16, v15
	v_mul_f16_sdwa v16, v14, v3 dst_sel:DWORD dst_unused:UNUSED_PAD src0_sel:DWORD src1_sel:WORD_1
	v_mul_f16_e32 v78, 0xbb7b, v61
	v_fma_f16 v25, v15, v3, -v16
	v_mul_f16_sdwa v15, v15, v3 dst_sel:DWORD dst_unused:UNUSED_PAD src0_sel:DWORD src1_sel:WORD_1
	v_fma_f16 v79, v29, s6, -v78
	v_fma_f16 v78, v29, s6, v78
	v_fma_f16 v26, v14, v3, v15
	s_waitcnt lgkmcnt(0)
	v_lshrrev_b32_e32 v14, 16, v12
	s_waitcnt vmcnt(0)
	v_mul_f16_sdwa v15, v12, v8 dst_sel:DWORD dst_unused:UNUSED_PAD src0_sel:DWORD src1_sel:WORD_1
	v_add_f16_e32 v40, v17, v78
	v_fma_f16 v78, v14, v8, v15
	v_mul_f16_sdwa v14, v14, v8 dst_sel:DWORD dst_unused:UNUSED_PAD src0_sel:DWORD src1_sel:WORD_1
	v_add_f16_e32 v42, v17, v79
	v_fma_f16 v79, v12, v8, -v14
	ds_read2_b32 v[14:15], v65 offset0:112 offset1:164
	v_mul_f16_e32 v62, 0xb770, v61
	v_mul_f16_e32 v66, 0xb770, v60
	;; [unrolled: 1-line block ×7, first 2 shown]
	v_lshrrev_b32_e32 v12, 16, v13
	v_fma_f16 v63, v29, s7, -v62
	v_fma_f16 v67, v32, s7, v66
	v_fma_f16 v62, v29, s7, v62
	v_fma_f16 v66, v32, s7, -v66
	v_fma_f16 v81, v32, s6, v80
	v_fma_f16 v80, v32, s6, -v80
	v_fma_f16 v115, v29, s16, -v114
	v_fma_f16 v117, v32, s16, v116
	v_fma_f16 v114, v29, s16, v114
	v_fma_f16 v116, v32, s16, -v116
	v_fma_f16 v118, v29, s17, -v61
	v_fma_f16 v29, v29, s17, v61
	v_fma_f16 v119, v32, s17, v60
	v_fma_f16 v60, v32, s17, -v60
	v_mul_f16_sdwa v16, v12, v8 dst_sel:DWORD dst_unused:UNUSED_PAD src0_sel:DWORD src1_sel:WORD_1
	v_add_f16_e32 v147, v17, v28
	v_add_f16_sdwa v148, v17, v19 dst_sel:DWORD dst_unused:UNUSED_PAD src0_sel:WORD_1 src1_sel:DWORD
	v_add_f16_e32 v61, v17, v63
	v_add_f16_sdwa v54, v17, v67 dst_sel:DWORD dst_unused:UNUSED_PAD src0_sel:WORD_1 src1_sel:DWORD
	;; [unrolled: 2-line block ×3, first 2 shown]
	v_add_f16_sdwa v41, v17, v81 dst_sel:DWORD dst_unused:UNUSED_PAD src0_sel:WORD_1 src1_sel:DWORD
	v_add_f16_sdwa v37, v17, v80 dst_sel:DWORD dst_unused:UNUSED_PAD src0_sel:WORD_1 src1_sel:DWORD
	v_add_f16_e32 v36, v17, v115
	v_add_f16_sdwa v35, v17, v117 dst_sel:DWORD dst_unused:UNUSED_PAD src0_sel:WORD_1 src1_sel:DWORD
	v_add_f16_e32 v34, v17, v114
	;; [unrolled: 2-line block ×4, first 2 shown]
	v_add_f16_sdwa v28, v17, v60 dst_sel:DWORD dst_unused:UNUSED_PAD src0_sel:WORD_1 src1_sel:DWORD
	v_fma_f16 v18, v13, v8, -v16
	ds_read2_b32 v[16:17], v46 offset0:88 offset1:140
	v_mul_f16_sdwa v13, v13, v8 dst_sel:DWORD dst_unused:UNUSED_PAD src0_sel:DWORD src1_sel:WORD_1
	v_fma_f16 v19, v12, v8, v13
	s_waitcnt lgkmcnt(1)
	v_lshrrev_b32_e32 v12, 16, v14
	v_mul_f16_sdwa v13, v14, v9 dst_sel:DWORD dst_unused:UNUSED_PAD src0_sel:DWORD src1_sel:WORD_1
	v_fma_f16 v80, v12, v9, v13
	v_mul_f16_sdwa v12, v12, v9 dst_sel:DWORD dst_unused:UNUSED_PAD src0_sel:DWORD src1_sel:WORD_1
	v_lshrrev_b32_e32 v13, 16, v15
	v_fma_f16 v81, v14, v9, -v12
	v_mul_f16_sdwa v12, v13, v9 dst_sel:DWORD dst_unused:UNUSED_PAD src0_sel:DWORD src1_sel:WORD_1
	v_mul_f16_sdwa v14, v15, v9 dst_sel:DWORD dst_unused:UNUSED_PAD src0_sel:DWORD src1_sel:WORD_1
	ds_read2_b32 v[62:63], v56 offset0:64 offset1:116
	v_fma_f16 v12, v15, v9, -v12
	v_fma_f16 v13, v13, v9, v14
	s_waitcnt lgkmcnt(1)
	v_lshrrev_b32_e32 v14, 16, v16
	v_mul_f16_sdwa v15, v16, v10 dst_sel:DWORD dst_unused:UNUSED_PAD src0_sel:DWORD src1_sel:WORD_1
	v_fma_f16 v114, v14, v10, v15
	v_mul_f16_sdwa v14, v14, v10 dst_sel:DWORD dst_unused:UNUSED_PAD src0_sel:DWORD src1_sel:WORD_1
	v_fma_f16 v115, v16, v10, -v14
	v_lshrrev_b32_e32 v14, 16, v17
	v_mul_f16_sdwa v15, v14, v10 dst_sel:DWORD dst_unused:UNUSED_PAD src0_sel:DWORD src1_sel:WORD_1
	v_mul_f16_sdwa v16, v17, v10 dst_sel:DWORD dst_unused:UNUSED_PAD src0_sel:DWORD src1_sel:WORD_1
	v_fma_f16 v15, v17, v10, -v15
	v_fma_f16 v16, v14, v10, v16
	s_waitcnt lgkmcnt(0)
	v_lshrrev_b32_e32 v14, 16, v62
	v_mul_f16_sdwa v17, v62, v11 dst_sel:DWORD dst_unused:UNUSED_PAD src0_sel:DWORD src1_sel:WORD_1
	ds_read2_b32 v[66:67], v56 offset0:168 offset1:220
	v_fma_f16 v116, v14, v11, v17
	v_mul_f16_sdwa v14, v14, v11 dst_sel:DWORD dst_unused:UNUSED_PAD src0_sel:DWORD src1_sel:WORD_1
	v_fma_f16 v117, v62, v11, -v14
	v_lshrrev_b32_e32 v14, 16, v63
	v_mul_f16_sdwa v17, v14, v11 dst_sel:DWORD dst_unused:UNUSED_PAD src0_sel:DWORD src1_sel:WORD_1
	v_fma_f16 v21, v63, v11, -v17
	v_mul_f16_sdwa v17, v63, v11 dst_sel:DWORD dst_unused:UNUSED_PAD src0_sel:DWORD src1_sel:WORD_1
	v_fma_f16 v24, v14, v11, v17
	s_waitcnt lgkmcnt(0)
	v_lshrrev_b32_e32 v14, 16, v66
	v_mul_f16_sdwa v17, v66, v4 dst_sel:DWORD dst_unused:UNUSED_PAD src0_sel:DWORD src1_sel:WORD_1
	ds_read2_b32 v[62:63], v64 offset0:16 offset1:68
	v_fma_f16 v118, v14, v4, v17
	v_mul_f16_sdwa v14, v14, v4 dst_sel:DWORD dst_unused:UNUSED_PAD src0_sel:DWORD src1_sel:WORD_1
	v_fma_f16 v119, v66, v4, -v14
	v_lshrrev_b32_e32 v14, 16, v67
	v_mul_f16_sdwa v17, v14, v4 dst_sel:DWORD dst_unused:UNUSED_PAD src0_sel:DWORD src1_sel:WORD_1
	v_fma_f16 v55, v67, v4, -v17
	v_mul_f16_sdwa v17, v67, v4 dst_sel:DWORD dst_unused:UNUSED_PAD src0_sel:DWORD src1_sel:WORD_1
	;; [unrolled: 12-line block ×3, first 2 shown]
	v_fma_f16 v63, v14, v5, v17
	s_waitcnt lgkmcnt(0)
	v_lshrrev_b32_e32 v14, 16, v66
	v_mul_f16_sdwa v17, v66, v6 dst_sel:DWORD dst_unused:UNUSED_PAD src0_sel:DWORD src1_sel:WORD_1
	v_fma_f16 v150, v14, v6, v17
	v_mul_f16_sdwa v14, v14, v6 dst_sel:DWORD dst_unused:UNUSED_PAD src0_sel:DWORD src1_sel:WORD_1
	v_fma_f16 v66, v66, v6, -v14
	v_lshrrev_b32_e32 v14, 16, v67
	v_mul_f16_sdwa v17, v14, v6 dst_sel:DWORD dst_unused:UNUSED_PAD src0_sel:DWORD src1_sel:WORD_1
	v_fma_f16 v151, v67, v6, -v17
	v_mul_f16_sdwa v17, v67, v6 dst_sel:DWORD dst_unused:UNUSED_PAD src0_sel:DWORD src1_sel:WORD_1
	v_fma_f16 v67, v14, v6, v17
	v_add_f16_e32 v14, v121, v70
	v_add_f16_e32 v14, v14, v75
	;; [unrolled: 1-line block ×22, first 2 shown]
	v_sub_f16_e32 v66, v70, v66
	v_sub_f16_e32 v70, v71, v150
	v_add_f16_e32 v17, v17, v69
	v_add_f16_e32 v69, v71, v150
	v_mul_f16_e32 v71, 0xba95, v70
	v_fma_f16 v121, v68, s3, -v71
	v_mul_f16_e32 v122, 0xba95, v66
	v_add_f16_e32 v121, v121, v123
	v_fma_f16 v123, v69, s3, v122
	v_add_f16_e32 v123, v123, v124
	v_fma_f16 v71, v68, s3, v71
	v_fma_f16 v122, v69, s3, -v122
	v_mul_f16_e32 v124, 0xbb7b, v70
	v_add_f16_e32 v71, v71, v125
	v_add_f16_e32 v122, v122, v126
	v_fma_f16 v125, v68, s6, -v124
	v_mul_f16_e32 v126, 0xbb7b, v66
	v_add_f16_e32 v125, v125, v127
	v_fma_f16 v127, v69, s6, v126
	v_add_f16_e32 v127, v127, v128
	v_fma_f16 v124, v68, s6, v124
	v_fma_f16 v126, v69, s6, -v126
	v_mul_f16_e32 v128, 0xb3a8, v70
	v_add_f16_e32 v124, v124, v129
	v_add_f16_e32 v126, v126, v130
	;; [unrolled: 10-line block ×4, first 2 shown]
	v_fma_f16 v137, v68, s2, -v136
	v_mul_f16_e32 v138, 0x3bf1, v66
	v_add_f16_e32 v137, v137, v139
	v_fma_f16 v139, v69, s2, v138
	v_mul_f16_e32 v70, 0x3770, v70
	v_add_f16_e32 v139, v139, v140
	v_fma_f16 v136, v68, s2, v136
	v_fma_f16 v140, v68, s7, -v70
	v_mul_f16_e32 v66, 0x3770, v66
	v_fma_f16 v68, v68, s7, v70
	v_add_f16_e32 v70, v74, v120
	v_sub_f16_e32 v74, v74, v120
	v_add_f16_e32 v136, v136, v141
	v_fma_f16 v138, v69, s2, -v138
	v_fma_f16 v141, v69, s7, v66
	v_fma_f16 v66, v69, s7, -v66
	v_add_f16_e32 v69, v75, v62
	v_sub_f16_e32 v62, v75, v62
	v_mul_f16_e32 v75, 0xbbf1, v74
	v_fma_f16 v120, v69, s2, -v75
	v_add_f16_e32 v120, v120, v121
	v_mul_f16_e32 v121, 0xbbf1, v62
	v_fma_f16 v75, v69, s2, v75
	v_add_f16_e32 v138, v138, v142
	v_fma_f16 v142, v70, s2, v121
	v_add_f16_e32 v71, v75, v71
	v_fma_f16 v75, v70, s2, -v121
	v_mul_f16_e32 v121, 0xb3a8, v74
	v_add_f16_e32 v75, v75, v122
	v_fma_f16 v122, v69, s17, -v121
	v_add_f16_e32 v122, v122, v125
	v_mul_f16_e32 v125, 0xb3a8, v62
	v_fma_f16 v121, v69, s17, v121
	v_add_f16_e32 v123, v142, v123
	v_fma_f16 v142, v70, s17, v125
	v_add_f16_e32 v121, v121, v124
	v_fma_f16 v124, v70, s17, -v125
	v_mul_f16_e32 v125, 0x3b7b, v74
	v_add_f16_e32 v124, v124, v126
	;; [unrolled: 10-line block ×4, first 2 shown]
	v_fma_f16 v134, v69, s3, -v133
	v_add_f16_e32 v134, v134, v137
	v_mul_f16_e32 v137, 0xba95, v62
	v_fma_f16 v133, v69, s3, v133
	v_add_f16_e32 v133, v133, v136
	v_fma_f16 v136, v70, s3, -v137
	v_mul_f16_e32 v74, 0xb94e, v74
	v_mul_f16_e32 v62, 0xb94e, v62
	v_add_f16_e32 v68, v68, v145
	v_add_f16_e32 v66, v66, v146
	;; [unrolled: 1-line block ×3, first 2 shown]
	v_fma_f16 v142, v70, s3, v137
	v_add_f16_e32 v136, v136, v138
	v_fma_f16 v137, v69, s16, -v74
	v_fma_f16 v138, v70, s16, v62
	v_fma_f16 v69, v69, s16, v74
	v_fma_f16 v62, v70, s16, -v62
	v_sub_f16_e32 v74, v76, v118
	v_add_f16_e32 v68, v69, v68
	v_add_f16_e32 v62, v62, v66
	;; [unrolled: 1-line block ×3, first 2 shown]
	v_sub_f16_e32 v69, v77, v119
	v_add_f16_e32 v70, v76, v118
	v_mul_f16_e32 v76, 0xbb7b, v74
	v_fma_f16 v77, v66, s6, -v76
	v_mul_f16_e32 v118, 0xbb7b, v69
	v_fma_f16 v76, v66, s6, v76
	v_add_f16_e32 v71, v76, v71
	v_fma_f16 v76, v70, s6, -v118
	v_add_f16_e32 v75, v76, v75
	v_mul_f16_e32 v76, 0x394e, v74
	v_fma_f16 v119, v70, s6, v118
	v_fma_f16 v118, v66, s16, -v76
	v_fma_f16 v76, v66, s16, v76
	v_add_f16_e32 v77, v77, v120
	v_mul_f16_e32 v120, 0x394e, v69
	v_add_f16_e32 v76, v76, v121
	v_mul_f16_e32 v121, 0x3770, v74
	v_add_f16_e32 v119, v119, v123
	v_add_f16_e32 v118, v118, v122
	v_fma_f16 v122, v70, s16, v120
	v_fma_f16 v120, v70, s16, -v120
	v_fma_f16 v123, v66, s7, -v121
	v_fma_f16 v121, v66, s7, v121
	v_add_f16_e32 v120, v120, v124
	v_mul_f16_e32 v124, 0x3770, v69
	v_add_f16_e32 v121, v121, v125
	v_mul_f16_e32 v125, 0xbbf1, v74
	v_add_f16_e32 v122, v122, v127
	v_add_f16_e32 v123, v123, v126
	v_fma_f16 v126, v70, s7, v124
	v_fma_f16 v124, v70, s7, -v124
	v_fma_f16 v127, v66, s2, -v125
	v_fma_f16 v125, v66, s2, v125
	v_add_f16_e32 v124, v124, v128
	v_mul_f16_e32 v128, 0xbbf1, v69
	v_add_f16_e32 v125, v125, v129
	v_mul_f16_e32 v129, 0x33a8, v74
	v_add_f16_e32 v126, v126, v131
	v_add_f16_e32 v127, v127, v130
	v_fma_f16 v130, v70, s2, v128
	v_fma_f16 v128, v70, s2, -v128
	v_fma_f16 v131, v66, s17, -v129
	v_fma_f16 v129, v66, s17, v129
	v_mul_f16_e32 v74, 0x3a95, v74
	v_add_f16_e32 v128, v128, v132
	v_mul_f16_e32 v132, 0x33a8, v69
	v_add_f16_e32 v129, v129, v133
	v_fma_f16 v133, v66, s3, -v74
	v_mul_f16_e32 v69, 0x3a95, v69
	v_fma_f16 v66, v66, s3, v74
	v_add_f16_e32 v66, v66, v68
	v_fma_f16 v68, v70, s3, -v69
	v_sub_f16_e32 v74, v78, v116
	v_add_f16_e32 v130, v130, v135
	v_add_f16_e32 v131, v131, v134
	v_fma_f16 v134, v70, s17, v132
	v_fma_f16 v132, v70, s17, -v132
	v_fma_f16 v135, v70, s3, v69
	v_add_f16_e32 v62, v68, v62
	v_add_f16_e32 v68, v79, v117
	;; [unrolled: 1-line block ×3, first 2 shown]
	v_mul_f16_e32 v78, 0xb94e, v74
	v_sub_f16_e32 v69, v79, v117
	v_fma_f16 v79, v68, s16, -v78
	v_add_f16_e32 v77, v79, v77
	v_mul_f16_e32 v79, 0xb94e, v69
	v_fma_f16 v78, v68, s16, v78
	v_add_f16_e32 v71, v78, v71
	v_fma_f16 v78, v70, s16, -v79
	v_add_f16_e32 v75, v78, v75
	v_mul_f16_e32 v78, 0x3bf1, v74
	v_fma_f16 v116, v70, s16, v79
	v_fma_f16 v79, v68, s2, -v78
	v_mul_f16_e32 v117, 0x3bf1, v69
	v_fma_f16 v78, v68, s2, v78
	v_add_f16_e32 v79, v79, v118
	v_fma_f16 v118, v70, s2, v117
	v_add_f16_e32 v76, v78, v76
	v_fma_f16 v78, v70, s2, -v117
	v_mul_f16_e32 v117, 0xba95, v74
	v_add_f16_e32 v116, v116, v119
	v_fma_f16 v119, v68, s3, -v117
	v_fma_f16 v117, v68, s3, v117
	v_add_f16_e32 v78, v78, v120
	v_mul_f16_e32 v120, 0xba95, v69
	v_add_f16_e32 v117, v117, v121
	v_mul_f16_e32 v121, 0x33a8, v74
	v_add_f16_e32 v118, v118, v122
	v_add_f16_e32 v119, v119, v123
	v_fma_f16 v122, v70, s3, v120
	v_fma_f16 v120, v70, s3, -v120
	v_fma_f16 v123, v68, s17, -v121
	v_fma_f16 v121, v68, s17, v121
	v_add_f16_e32 v120, v120, v124
	v_mul_f16_e32 v124, 0x33a8, v69
	v_add_f16_e32 v121, v121, v125
	v_mul_f16_e32 v125, 0x3770, v74
	v_add_f16_e32 v122, v122, v126
	v_add_f16_e32 v123, v123, v127
	v_fma_f16 v126, v70, s17, v124
	v_fma_f16 v124, v70, s17, -v124
	v_fma_f16 v127, v68, s7, -v125
	v_fma_f16 v125, v68, s7, v125
	v_mul_f16_e32 v74, 0xbb7b, v74
	v_add_f16_e32 v124, v124, v128
	v_mul_f16_e32 v128, 0x3770, v69
	v_add_f16_e32 v125, v125, v129
	v_fma_f16 v129, v68, s6, -v74
	v_mul_f16_e32 v69, 0xbb7b, v69
	v_fma_f16 v68, v68, s6, v74
	v_add_f16_e32 v66, v68, v66
	v_fma_f16 v68, v70, s6, -v69
	v_sub_f16_e32 v74, v80, v114
	v_add_f16_e32 v126, v126, v130
	v_add_f16_e32 v127, v127, v131
	v_fma_f16 v130, v70, s7, v128
	v_fma_f16 v128, v70, s7, -v128
	v_fma_f16 v131, v70, s6, v69
	v_add_f16_e32 v62, v68, v62
	v_add_f16_e32 v68, v81, v115
	;; [unrolled: 1-line block ×3, first 2 shown]
	v_mul_f16_e32 v80, 0xb3a8, v74
	v_sub_f16_e32 v69, v81, v115
	v_fma_f16 v81, v68, s17, -v80
	v_add_f16_e32 v77, v81, v77
	v_mul_f16_e32 v81, 0xb3a8, v69
	v_fma_f16 v80, v68, s17, v80
	v_add_f16_e32 v71, v80, v71
	v_fma_f16 v80, v70, s17, -v81
	v_add_f16_e32 v75, v80, v75
	v_mul_f16_e32 v80, 0x3770, v74
	v_fma_f16 v114, v70, s17, v81
	v_fma_f16 v81, v68, s7, -v80
	v_add_f16_e32 v79, v81, v79
	v_mul_f16_e32 v81, 0x3770, v69
	v_fma_f16 v80, v68, s7, v80
	v_add_f16_e32 v115, v114, v116
	v_fma_f16 v114, v70, s7, v81
	v_add_f16_e32 v76, v80, v76
	v_fma_f16 v80, v70, s7, -v81
	v_add_f16_e32 v116, v114, v118
	v_add_f16_e32 v78, v80, v78
	v_mul_f16_e32 v80, 0xb94e, v74
	v_mul_f16_e32 v114, 0xb94e, v69
	v_fma_f16 v81, v68, s16, -v80
	v_fma_f16 v118, v70, s16, v114
	v_fma_f16 v80, v68, s16, v80
	v_fma_f16 v114, v70, s16, -v114
	v_add_f16_e32 v80, v80, v117
	v_add_f16_e32 v117, v114, v120
	v_mul_f16_e32 v114, 0x3a95, v74
	v_add_f16_e32 v81, v81, v119
	v_fma_f16 v119, v68, s3, -v114
	v_mul_f16_e32 v120, 0x3a95, v69
	v_fma_f16 v114, v68, s3, v114
	v_add_f16_e32 v121, v114, v121
	v_fma_f16 v114, v70, s3, -v120
	v_add_f16_e32 v118, v118, v122
	v_fma_f16 v122, v70, s3, v120
	v_add_f16_e32 v120, v114, v124
	v_mul_f16_e32 v114, 0xbb7b, v74
	v_add_f16_e32 v132, v132, v136
	v_add_f16_e32 v119, v119, v123
	v_fma_f16 v123, v68, s6, -v114
	v_mul_f16_e32 v124, 0xbb7b, v69
	v_fma_f16 v114, v68, s6, v114
	v_add_f16_e32 v128, v128, v132
	v_add_f16_e32 v125, v114, v125
	v_fma_f16 v114, v70, s6, -v124
	v_mul_f16_e32 v74, 0x3bf1, v74
	v_add_f16_e32 v122, v122, v126
	v_fma_f16 v126, v70, s6, v124
	v_add_f16_e32 v124, v114, v128
	v_fma_f16 v114, v68, s2, -v74
	v_mul_f16_e32 v69, 0x3bf1, v69
	v_fma_f16 v68, v68, s2, v74
	v_add_f16_e32 v66, v68, v66
	v_fma_f16 v68, v70, s2, -v69
	v_add_f16_e32 v62, v68, v62
	v_add_f16_e32 v68, v147, v72
	;; [unrolled: 1-line block ×27, first 2 shown]
	v_fma_f16 v114, v70, s2, v69
	v_add_f16_e32 v68, v68, v67
	v_add_f16_e32 v70, v73, v67
	v_sub_f16_e32 v67, v73, v67
	v_add_f16_e32 v20, v68, v20
	v_add_f16_e32 v68, v72, v151
	v_sub_f16_e32 v69, v72, v151
	v_mul_f16_e32 v72, 0xba95, v67
	v_fma_f16 v73, v68, s3, -v72
	v_add_f16_e32 v61, v73, v61
	v_mul_f16_e32 v73, 0xba95, v69
	v_fma_f16 v72, v68, s3, v72
	v_add_f16_e32 v53, v72, v53
	v_fma_f16 v72, v70, s3, -v73
	v_add_f16_e32 v52, v72, v52
	v_mul_f16_e32 v72, 0xbb7b, v67
	v_fma_f16 v74, v70, s3, v73
	v_fma_f16 v73, v68, s6, -v72
	v_add_f16_e32 v51, v73, v51
	v_mul_f16_e32 v73, 0xbb7b, v69
	v_fma_f16 v72, v68, s6, v72
	v_add_f16_e32 v49, v72, v49
	v_fma_f16 v72, v70, s6, -v73
	v_add_f16_e32 v48, v72, v48
	v_mul_f16_e32 v72, 0xb3a8, v67
	v_add_f16_e32 v54, v74, v54
	v_fma_f16 v74, v70, s6, v73
	v_fma_f16 v73, v68, s17, -v72
	v_add_f16_e32 v47, v73, v47
	v_mul_f16_e32 v73, 0xb3a8, v69
	v_fma_f16 v72, v68, s17, v72
	v_add_f16_e32 v44, v72, v44
	v_fma_f16 v72, v70, s17, -v73
	v_add_f16_e32 v43, v72, v43
	v_mul_f16_e32 v72, 0x394e, v67
	v_add_f16_e32 v50, v74, v50
	;; [unrolled: 10-line block ×3, first 2 shown]
	v_fma_f16 v74, v70, s16, v73
	v_fma_f16 v73, v68, s2, -v72
	v_add_f16_e32 v36, v73, v36
	v_mul_f16_e32 v73, 0x3bf1, v69
	v_fma_f16 v72, v68, s2, v72
	v_add_f16_e32 v34, v72, v34
	v_fma_f16 v72, v70, s2, -v73
	v_mul_f16_e32 v67, 0x3770, v67
	v_add_f16_e32 v33, v72, v33
	v_fma_f16 v72, v68, s7, -v67
	v_mul_f16_e32 v69, 0x3770, v69
	v_fma_f16 v67, v68, s7, v67
	v_add_f16_e32 v29, v67, v29
	v_fma_f16 v67, v70, s7, -v69
	v_add_f16_e32 v68, v39, v63
	v_sub_f16_e32 v39, v39, v63
	v_add_f16_e32 v28, v67, v28
	v_add_f16_e32 v67, v38, v149
	v_mul_f16_e32 v63, 0xbbf1, v39
	v_add_f16_e32 v32, v72, v32
	v_fma_f16 v72, v70, s7, v69
	v_sub_f16_e32 v38, v38, v149
	v_fma_f16 v69, v67, s2, -v63
	v_add_f16_e32 v61, v69, v61
	v_mul_f16_e32 v69, 0xbbf1, v38
	v_fma_f16 v63, v67, s2, v63
	v_add_f16_e32 v53, v63, v53
	v_fma_f16 v63, v68, s2, -v69
	v_add_f16_e32 v52, v63, v52
	v_mul_f16_e32 v63, 0xb3a8, v39
	v_add_f16_e32 v41, v74, v41
	v_fma_f16 v74, v70, s2, v73
	v_fma_f16 v70, v68, s2, v69
	v_fma_f16 v69, v67, s17, -v63
	v_add_f16_e32 v51, v69, v51
	v_mul_f16_e32 v69, 0xb3a8, v38
	v_fma_f16 v63, v67, s17, v63
	v_add_f16_e32 v49, v63, v49
	v_fma_f16 v63, v68, s17, -v69
	v_add_f16_e32 v48, v63, v48
	v_mul_f16_e32 v63, 0x3b7b, v39
	v_add_f16_e32 v54, v70, v54
	v_fma_f16 v70, v68, s17, v69
	v_fma_f16 v69, v67, s6, -v63
	v_add_f16_e32 v47, v69, v47
	v_mul_f16_e32 v69, 0x3b7b, v38
	v_fma_f16 v63, v67, s6, v63
	v_add_f16_e32 v44, v63, v44
	v_fma_f16 v63, v68, s6, -v69
	v_add_f16_e32 v43, v63, v43
	v_mul_f16_e32 v63, 0x3770, v39
	v_add_f16_e32 v50, v70, v50
	;; [unrolled: 10-line block ×3, first 2 shown]
	v_fma_f16 v70, v68, s7, v69
	v_fma_f16 v69, v67, s3, -v63
	v_add_f16_e32 v36, v69, v36
	v_mul_f16_e32 v69, 0xba95, v38
	v_fma_f16 v63, v67, s3, v63
	v_add_f16_e32 v34, v63, v34
	v_fma_f16 v63, v68, s3, -v69
	v_mul_f16_e32 v39, 0xb94e, v39
	v_add_f16_e32 v33, v63, v33
	v_fma_f16 v63, v67, s16, -v39
	v_mul_f16_e32 v38, 0xb94e, v38
	v_fma_f16 v39, v67, s16, v39
	v_add_f16_e32 v32, v63, v32
	v_fma_f16 v63, v68, s16, v38
	v_add_f16_e32 v29, v39, v29
	v_fma_f16 v38, v68, s16, -v38
	v_add_f16_e32 v39, v26, v60
	v_sub_f16_e32 v26, v26, v60
	v_add_f16_e32 v28, v38, v28
	v_add_f16_e32 v38, v25, v55
	v_sub_f16_e32 v25, v25, v55
	v_mul_f16_e32 v55, 0xbb7b, v26
	v_fma_f16 v60, v38, s6, -v55
	v_add_f16_e32 v60, v60, v61
	v_mul_f16_e32 v61, 0xbb7b, v25
	v_fma_f16 v55, v38, s6, v55
	v_add_f16_e32 v53, v55, v53
	v_fma_f16 v55, v39, s6, -v61
	v_add_f16_e32 v31, v72, v31
	v_add_f16_e32 v52, v55, v52
	v_mul_f16_e32 v55, 0x394e, v26
	v_add_f16_e32 v31, v63, v31
	v_fma_f16 v63, v39, s6, v61
	v_fma_f16 v61, v38, s16, -v55
	v_add_f16_e32 v51, v61, v51
	v_mul_f16_e32 v61, 0x394e, v25
	v_fma_f16 v55, v38, s16, v55
	v_add_f16_e32 v49, v55, v49
	v_fma_f16 v55, v39, s16, -v61
	v_add_f16_e32 v48, v55, v48
	v_mul_f16_e32 v55, 0x3770, v26
	v_add_f16_e32 v54, v63, v54
	v_fma_f16 v63, v39, s16, v61
	v_fma_f16 v61, v38, s7, -v55
	v_add_f16_e32 v47, v61, v47
	v_mul_f16_e32 v61, 0x3770, v25
	v_fma_f16 v55, v38, s7, v55
	v_add_f16_e32 v44, v55, v44
	v_fma_f16 v55, v39, s7, -v61
	v_add_f16_e32 v43, v55, v43
	v_mul_f16_e32 v55, 0xbbf1, v26
	v_add_f16_e32 v50, v63, v50
	v_fma_f16 v63, v39, s7, v61
	v_fma_f16 v61, v38, s2, -v55
	v_add_f16_e32 v42, v61, v42
	v_mul_f16_e32 v61, 0xbbf1, v25
	v_fma_f16 v55, v38, s2, v55
	v_add_f16_e32 v40, v55, v40
	v_fma_f16 v55, v39, s2, -v61
	v_add_f16_e32 v37, v55, v37
	v_mul_f16_e32 v55, 0x33a8, v26
	v_add_f16_e32 v45, v63, v45
	v_fma_f16 v63, v39, s2, v61
	v_fma_f16 v61, v38, s17, -v55
	v_add_f16_e32 v36, v61, v36
	v_mul_f16_e32 v61, 0x33a8, v25
	v_fma_f16 v55, v38, s17, v55
	v_add_f16_e32 v34, v55, v34
	v_fma_f16 v55, v39, s17, -v61
	v_mul_f16_e32 v26, 0x3a95, v26
	v_add_f16_e32 v33, v55, v33
	v_fma_f16 v55, v38, s3, -v26
	v_mul_f16_e32 v25, 0x3a95, v25
	v_add_f16_e32 v32, v55, v32
	v_fma_f16 v55, v39, s3, v25
	v_fma_f16 v25, v39, s3, -v25
	v_fma_f16 v26, v38, s3, v26
	v_add_f16_e32 v25, v25, v28
	v_add_f16_e32 v28, v18, v21
	v_sub_f16_e32 v18, v18, v21
	v_add_f16_e32 v41, v70, v41
	v_add_f16_e32 v26, v26, v29
	;; [unrolled: 1-line block ×3, first 2 shown]
	v_sub_f16_e32 v19, v19, v24
	v_mul_f16_e32 v38, 0xb94e, v18
	v_add_f16_e32 v41, v63, v41
	v_fma_f16 v63, v39, s17, v61
	v_mul_f16_e32 v21, 0xb94e, v19
	v_fma_f16 v39, v29, s16, v38
	v_fma_f16 v38, v29, s16, -v38
	v_fma_f16 v24, v28, s16, -v21
	v_fma_f16 v21, v28, s16, v21
	v_add_f16_e32 v38, v38, v52
	v_mul_f16_e32 v52, 0x3bf1, v19
	v_add_f16_e32 v21, v21, v53
	v_fma_f16 v53, v28, s2, -v52
	v_add_f16_e32 v51, v53, v51
	v_mul_f16_e32 v53, 0x3bf1, v18
	v_fma_f16 v52, v28, s2, v52
	v_add_f16_e32 v49, v52, v49
	v_fma_f16 v52, v29, s2, -v53
	v_add_f16_e32 v48, v52, v48
	v_mul_f16_e32 v52, 0xba95, v19
	v_add_f16_e32 v39, v39, v54
	v_fma_f16 v54, v29, s2, v53
	v_fma_f16 v53, v28, s3, -v52
	v_add_f16_e32 v47, v53, v47
	v_mul_f16_e32 v53, 0xba95, v18
	v_fma_f16 v52, v28, s3, v52
	v_add_f16_e32 v44, v52, v44
	v_fma_f16 v52, v29, s3, -v53
	v_add_f16_e32 v43, v52, v43
	v_mul_f16_e32 v52, 0x33a8, v19
	v_add_f16_e32 v50, v54, v50
	v_fma_f16 v54, v29, s3, v53
	;; [unrolled: 10-line block ×3, first 2 shown]
	v_fma_f16 v53, v28, s7, -v52
	v_add_f16_e32 v36, v53, v36
	v_mul_f16_e32 v53, 0x3770, v18
	v_fma_f16 v52, v28, s7, v52
	v_add_f16_e32 v34, v52, v34
	v_fma_f16 v52, v29, s7, -v53
	v_mul_f16_e32 v19, 0xbb7b, v19
	v_add_f16_e32 v33, v52, v33
	v_fma_f16 v52, v28, s6, -v19
	v_mul_f16_e32 v18, 0xbb7b, v18
	v_fma_f16 v19, v28, s6, v19
	v_add_f16_e32 v32, v52, v32
	v_fma_f16 v52, v29, s6, v18
	v_add_f16_e32 v19, v19, v26
	v_fma_f16 v18, v29, s6, -v18
	v_add_f16_e32 v26, v13, v16
	v_sub_f16_e32 v13, v13, v16
	v_add_f16_e32 v18, v18, v25
	v_add_f16_e32 v25, v12, v15
	v_sub_f16_e32 v12, v12, v15
	v_mul_f16_e32 v15, 0xb3a8, v13
	v_add_f16_e32 v24, v24, v60
	v_fma_f16 v16, v25, s17, -v15
	v_add_f16_e32 v16, v16, v24
	v_mul_f16_e32 v24, 0xb3a8, v12
	v_fma_f16 v15, v25, s17, v15
	v_add_f16_e32 v15, v15, v21
	v_fma_f16 v21, v26, s17, -v24
	v_fma_f16 v28, v26, s17, v24
	v_add_f16_e32 v21, v21, v38
	v_mul_f16_e32 v38, 0x3770, v12
	v_add_f16_e32 v28, v28, v39
	v_mul_f16_e32 v24, 0x3770, v13
	v_fma_f16 v39, v26, s7, v38
	v_fma_f16 v38, v26, s7, -v38
	v_add_f16_e32 v41, v54, v41
	v_fma_f16 v54, v29, s7, v53
	v_fma_f16 v29, v25, s7, -v24
	v_fma_f16 v24, v25, s7, v24
	v_add_f16_e32 v38, v38, v48
	v_mul_f16_e32 v48, 0xb94e, v13
	v_add_f16_e32 v24, v24, v49
	v_fma_f16 v49, v25, s16, -v48
	v_add_f16_e32 v47, v49, v47
	v_mul_f16_e32 v49, 0xb94e, v12
	v_fma_f16 v48, v25, s16, v48
	v_add_f16_e32 v44, v48, v44
	v_fma_f16 v48, v26, s16, -v49
	v_add_f16_e32 v43, v48, v43
	v_mul_f16_e32 v48, 0x3a95, v13
	v_add_f16_e32 v39, v39, v50
	v_fma_f16 v50, v26, s16, v49
	v_fma_f16 v49, v25, s3, -v48
	v_add_f16_e32 v42, v49, v42
	v_mul_f16_e32 v49, 0x3a95, v12
	v_fma_f16 v48, v25, s3, v48
	v_add_f16_e32 v40, v48, v40
	v_fma_f16 v48, v26, s3, -v49
	v_add_f16_e32 v37, v48, v37
	v_mul_f16_e32 v48, 0xbb7b, v13
	v_add_f16_e32 v45, v50, v45
	v_fma_f16 v50, v26, s3, v49
	v_fma_f16 v49, v25, s6, -v48
	v_add_f16_e32 v36, v49, v36
	v_mul_f16_e32 v49, 0xbb7b, v12
	v_fma_f16 v48, v25, s6, v48
	v_add_f16_e32 v34, v48, v34
	v_fma_f16 v48, v26, s6, -v49
	v_mul_f16_e32 v13, 0x3bf1, v13
	v_add_f16_e32 v33, v48, v33
	v_fma_f16 v48, v25, s2, -v13
	v_mul_f16_e32 v12, 0x3bf1, v12
	v_add_f16_e32 v141, v141, v144
	v_add_f16_e32 v32, v48, v32
	v_fma_f16 v48, v26, s2, v12
	v_fma_f16 v12, v26, s2, -v12
	v_add_f16_e32 v138, v138, v141
	v_add_f16_e32 v12, v12, v18
	v_lshrrev_b32_e32 v18, 1, v108
	v_add_f16_e32 v139, v142, v139
	v_add_f16_e32 v135, v135, v138
	v_mul_u32_u24_e32 v18, 26, v18
	v_add_f16_e32 v134, v134, v139
	v_add_f16_e32 v131, v131, v135
	v_or_b32_e32 v18, v18, v23
	v_add_f16_e32 v130, v130, v134
	v_add_f16_e32 v128, v114, v131
	v_lshlrev_b32_e32 v114, 2, v18
	v_pack_b32_f16 v14, v14, v17
	v_pack_b32_f16 v17, v77, v115
	v_add_f16_e32 v126, v126, v130
	s_waitcnt lgkmcnt(0)
	; wave barrier
	ds_write2_b32 v114, v14, v17 offset1:2
	v_pack_b32_f16 v14, v79, v116
	v_pack_b32_f16 v17, v81, v118
	ds_write2_b32 v114, v14, v17 offset0:4 offset1:6
	v_pack_b32_f16 v14, v119, v122
	v_pack_b32_f16 v17, v123, v126
	ds_write2_b32 v114, v14, v17 offset0:8 offset1:10
	;; [unrolled: 3-line block ×5, first 2 shown]
	v_pack_b32_f16 v14, v71, v75
	v_add_f16_e32 v35, v74, v35
	v_fma_f16 v70, v68, s3, v69
	ds_write_b32 v114, v14 offset:96
	v_lshrrev_b32_e32 v14, 1, v22
	v_add_f16_e32 v35, v70, v35
	v_mul_u32_u24_e32 v14, 26, v14
	v_add_f16_e32 v35, v63, v35
	v_or_b32_e32 v14, v14, v23
	v_add_f16_e32 v31, v55, v31
	v_add_f16_e32 v35, v54, v35
	;; [unrolled: 1-line block ×4, first 2 shown]
	v_fma_f16 v50, v26, s6, v49
	v_lshlrev_b32_e32 v115, 2, v14
	v_pack_b32_f16 v14, v27, v20
	v_pack_b32_f16 v16, v16, v28
	v_add_f16_e32 v31, v52, v31
	v_add_f16_e32 v35, v50, v35
	v_fma_f16 v13, v25, s2, v13
	ds_write2_b32 v115, v14, v16 offset1:2
	v_pack_b32_f16 v14, v29, v39
	v_pack_b32_f16 v16, v47, v45
	v_add_f16_e32 v31, v48, v31
	v_add_f16_e32 v13, v13, v19
	ds_write2_b32 v115, v14, v16 offset0:4 offset1:6
	v_pack_b32_f16 v14, v42, v41
	v_pack_b32_f16 v16, v36, v35
	ds_write2_b32 v115, v14, v16 offset0:8 offset1:10
	v_pack_b32_f16 v14, v32, v31
	v_pack_b32_f16 v12, v13, v12
	;; [unrolled: 3-line block ×3, first 2 shown]
	v_add_co_u32_e32 v118, vcc, s0, v108
	v_cmp_gt_u16_e64 s[0:1], 26, v108
	ds_write2_b32 v115, v12, v13 offset0:16 offset1:18
	v_pack_b32_f16 v12, v44, v43
	v_pack_b32_f16 v13, v24, v38
	v_cndmask_b32_e64 v62, v118, v108, s[0:1]
	v_mul_lo_u16_sdwa v16, v22, s18 dst_sel:DWORD dst_unused:UNUSED_PAD src0_sel:BYTE_0 src1_sel:DWORD
	ds_write2_b32 v115, v12, v13 offset0:20 offset1:22
	v_pack_b32_f16 v12, v15, v21
	v_mul_i32_i24_e32 v13, 48, v62
	v_lshrrev_b16_e32 v60, 11, v16
	ds_write_b32 v115, v12 offset:96
	v_mul_hi_i32_i24_e32 v12, 48, v62
	v_mov_b32_e32 v14, s15
	v_add_co_u32_e32 v28, vcc, s14, v13
	v_mul_lo_u16_e32 v16, 26, v60
	v_addc_co_u32_e32 v29, vcc, v14, v12, vcc
	v_sub_u16_e32 v16, v22, v16
	s_waitcnt lgkmcnt(0)
	; wave barrier
	s_waitcnt lgkmcnt(0)
	global_load_dwordx4 v[12:15], v[28:29], off offset:96
	v_and_b32_e32 v61, 0xff, v16
	v_mad_u64_u32 v[32:33], s[18:19], v61, 48, s[14:15]
	global_load_dwordx4 v[24:27], v[28:29], off offset:128
	global_load_dwordx4 v[16:19], v[32:33], off offset:96
	;; [unrolled: 1-line block ×3, first 2 shown]
	ds_read2_b32 v[37:38], v82 offset0:104 offset1:156
	ds_read2_b32 v[35:36], v30 offset0:96 offset1:148
	global_load_dwordx4 v[28:31], v[28:29], off offset:112
	v_cmp_lt_u16_e32 vcc, 25, v108
	s_waitcnt lgkmcnt(1)
	v_lshrrev_b32_e32 v41, 16, v37
	s_waitcnt lgkmcnt(0)
	v_lshrrev_b32_e32 v40, 16, v35
	v_lshrrev_b32_e32 v34, 16, v38
	;; [unrolled: 1-line block ×3, first 2 shown]
	s_waitcnt vmcnt(4)
	v_mul_f16_sdwa v42, v41, v12 dst_sel:DWORD dst_unused:UNUSED_PAD src0_sel:DWORD src1_sel:WORD_1
	v_fma_f16 v42, v37, v12, -v42
	v_mul_f16_sdwa v37, v37, v12 dst_sel:DWORD dst_unused:UNUSED_PAD src0_sel:DWORD src1_sel:WORD_1
	v_fma_f16 v41, v41, v12, v37
	s_waitcnt vmcnt(3)
	v_mul_f16_sdwa v37, v40, v27 dst_sel:DWORD dst_unused:UNUSED_PAD src0_sel:DWORD src1_sel:WORD_1
	v_fma_f16 v139, v35, v27, -v37
	v_mul_f16_sdwa v35, v35, v27 dst_sel:DWORD dst_unused:UNUSED_PAD src0_sel:DWORD src1_sel:WORD_1
	v_fma_f16 v116, v40, v27, v35
	s_waitcnt vmcnt(2)
	v_mul_f16_sdwa v35, v34, v16 dst_sel:DWORD dst_unused:UNUSED_PAD src0_sel:DWORD src1_sel:WORD_1
	s_waitcnt vmcnt(1)
	v_mul_f16_sdwa v40, v39, v23 dst_sel:DWORD dst_unused:UNUSED_PAD src0_sel:DWORD src1_sel:WORD_1
	v_fma_f16 v37, v38, v16, -v35
	v_mul_f16_sdwa v35, v38, v16 dst_sel:DWORD dst_unused:UNUSED_PAD src0_sel:DWORD src1_sel:WORD_1
	v_fma_f16 v66, v36, v23, -v40
	v_mul_f16_sdwa v36, v36, v23 dst_sel:DWORD dst_unused:UNUSED_PAD src0_sel:DWORD src1_sel:WORD_1
	v_sub_f16_e32 v40, v42, v139
	v_sub_f16_e32 v43, v41, v116
	v_fma_f16 v38, v34, v16, v35
	global_load_dwordx4 v[32:35], v[32:33], off offset:112
	v_fma_f16 v63, v39, v23, v36
	v_add_f16_e32 v36, v42, v139
	v_add_f16_e32 v39, v41, v116
	v_mul_f16_e32 v44, 0xb770, v43
	v_mul_f16_e32 v47, 0xb770, v40
	;; [unrolled: 1-line block ×12, first 2 shown]
	v_fma_f16 v45, v36, s7, -v44
	v_fma_f16 v44, v36, s7, v44
	v_fma_f16 v50, v36, s3, -v49
	v_fma_f16 v49, v36, s3, v49
	;; [unrolled: 2-line block ×6, first 2 shown]
	v_fma_f16 v36, v36, s17, v43
	v_fma_f16 v43, v39, s17, -v40
	v_sub_f16_e32 v40, v38, v63
	v_fma_f16 v48, v39, s7, v47
	v_fma_f16 v47, v39, s7, -v47
	v_fma_f16 v52, v39, s3, v51
	v_fma_f16 v51, v39, s3, -v51
	;; [unrolled: 2-line block ×5, first 2 shown]
	v_add_f16_e32 v39, v37, v66
	v_mul_f16_e32 v117, 0xbbf1, v40
	v_fma_f16 v140, v39, s2, -v117
	v_fma_f16 v141, v39, s2, v117
	v_mul_f16_e32 v117, 0xbb7b, v40
	v_mul_f16_e32 v78, 0xb770, v40
	;; [unrolled: 1-line block ×3, first 2 shown]
	v_fma_f16 v142, v39, s6, -v117
	v_fma_f16 v143, v39, s6, v117
	v_mul_f16_e32 v117, 0xb94e, v40
	v_mul_f16_e32 v40, 0xb3a8, v40
	v_sub_f16_e32 v119, v37, v66
	v_fma_f16 v79, v39, s7, -v78
	v_fma_f16 v78, v39, s7, v78
	v_fma_f16 v81, v39, s3, -v80
	v_fma_f16 v80, v39, s3, v80
	;; [unrolled: 2-line block ×4, first 2 shown]
	v_add_f16_e32 v117, v38, v63
	v_mul_f16_e32 v39, 0xb770, v119
	v_fma_f16 v120, v117, s7, v39
	v_fma_f16 v121, v117, s7, -v39
	v_mul_f16_e32 v39, 0xba95, v119
	v_fma_f16 v152, v117, s3, v39
	v_fma_f16 v153, v117, s3, -v39
	;; [unrolled: 3-line block ×4, first 2 shown]
	ds_read2_b32 v[39:40], v82 offset1:52
	v_mul_f16_e32 v122, 0xb94e, v119
	v_mul_f16_e32 v119, 0xb3a8, v119
	v_fma_f16 v158, v117, s16, v122
	v_fma_f16 v159, v117, s16, -v122
	s_waitcnt lgkmcnt(0)
	v_add_f16_e32 v146, v39, v36
	v_add_f16_e32 v128, v40, v37
	ds_read2_b32 v[36:37], v58 offset0:80 offset1:132
	v_add_f16_e32 v162, v39, v42
	v_add_f16_sdwa v163, v39, v41 dst_sel:DWORD dst_unused:UNUSED_PAD src0_sel:WORD_1 src1_sel:DWORD
	v_add_f16_e32 v164, v39, v45
	v_add_f16_sdwa v165, v39, v48 dst_sel:DWORD dst_unused:UNUSED_PAD src0_sel:WORD_1 src1_sel:DWORD
	;; [unrolled: 2-line block ×12, first 2 shown]
	v_add_f16_sdwa v144, v39, v43 dst_sel:DWORD dst_unused:UNUSED_PAD src0_sel:WORD_1 src1_sel:DWORD
	v_add_f16_sdwa v127, v40, v38 dst_sel:DWORD dst_unused:UNUSED_PAD src0_sel:WORD_1 src1_sel:DWORD
	ds_read2_b32 v[38:39], v59 offset0:56 offset1:108
	v_fma_f16 v160, v117, s17, v119
	v_fma_f16 v161, v117, s17, -v119
	v_add_f16_e32 v126, v40, v79
	v_add_f16_sdwa v125, v40, v120 dst_sel:DWORD dst_unused:UNUSED_PAD src0_sel:WORD_1 src1_sel:DWORD
	v_add_f16_e32 v124, v40, v78
	v_add_f16_sdwa v123, v40, v121 dst_sel:DWORD dst_unused:UNUSED_PAD src0_sel:WORD_1 src1_sel:DWORD
	;; [unrolled: 2-line block ×12, first 2 shown]
	s_waitcnt lgkmcnt(1)
	v_lshrrev_b32_e32 v40, 16, v36
	v_mul_f16_sdwa v41, v36, v13 dst_sel:DWORD dst_unused:UNUSED_PAD src0_sel:DWORD src1_sel:WORD_1
	v_fma_f16 v140, v40, v13, v41
	v_mul_f16_sdwa v40, v40, v13 dst_sel:DWORD dst_unused:UNUSED_PAD src0_sel:DWORD src1_sel:WORD_1
	v_fma_f16 v36, v36, v13, -v40
	ds_read2_b32 v[40:41], v59 offset0:160 offset1:212
	s_waitcnt lgkmcnt(1)
	v_lshrrev_b32_e32 v42, 16, v38
	v_mul_f16_sdwa v43, v38, v14 dst_sel:DWORD dst_unused:UNUSED_PAD src0_sel:DWORD src1_sel:WORD_1
	v_fma_f16 v143, v42, v14, v43
	v_mul_f16_sdwa v42, v42, v14 dst_sel:DWORD dst_unused:UNUSED_PAD src0_sel:DWORD src1_sel:WORD_1
	v_fma_f16 v38, v38, v14, -v42
	ds_read2_b32 v[42:43], v65 offset0:8 offset1:60
	;; [unrolled: 7-line block ×3, first 2 shown]
	s_waitcnt lgkmcnt(1)
	v_lshrrev_b32_e32 v47, 16, v42
	s_waitcnt vmcnt(1)
	v_mul_f16_sdwa v48, v42, v28 dst_sel:DWORD dst_unused:UNUSED_PAD src0_sel:DWORD src1_sel:WORD_1
	v_fma_f16 v153, v47, v28, v48
	v_mul_f16_sdwa v47, v47, v28 dst_sel:DWORD dst_unused:UNUSED_PAD src0_sel:DWORD src1_sel:WORD_1
	v_fma_f16 v42, v42, v28, -v47
	ds_read2_b32 v[46:47], v46 offset0:88 offset1:140
	s_waitcnt lgkmcnt(1)
	v_lshrrev_b32_e32 v48, 16, v44
	v_mul_f16_sdwa v49, v44, v29 dst_sel:DWORD dst_unused:UNUSED_PAD src0_sel:DWORD src1_sel:WORD_1
	v_fma_f16 v154, v48, v29, v49
	v_mul_f16_sdwa v48, v48, v29 dst_sel:DWORD dst_unused:UNUSED_PAD src0_sel:DWORD src1_sel:WORD_1
	v_fma_f16 v155, v44, v29, -v48
	ds_read2_b32 v[48:49], v56 offset0:64 offset1:116
	s_waitcnt lgkmcnt(1)
	v_lshrrev_b32_e32 v44, 16, v46
	v_mul_f16_sdwa v50, v46, v30 dst_sel:DWORD dst_unused:UNUSED_PAD src0_sel:DWORD src1_sel:WORD_1
	v_fma_f16 v156, v44, v30, v50
	ds_read2_b32 v[50:51], v56 offset0:168 offset1:220
	v_mul_f16_sdwa v44, v44, v30 dst_sel:DWORD dst_unused:UNUSED_PAD src0_sel:DWORD src1_sel:WORD_1
	ds_read2_b32 v[52:53], v64 offset0:16 offset1:68
	v_fma_f16 v157, v46, v30, -v44
	s_waitcnt lgkmcnt(2)
	v_lshrrev_b32_e32 v44, 16, v48
	v_mul_f16_sdwa v46, v48, v31 dst_sel:DWORD dst_unused:UNUSED_PAD src0_sel:DWORD src1_sel:WORD_1
	v_fma_f16 v158, v44, v31, v46
	v_mul_f16_sdwa v44, v44, v31 dst_sel:DWORD dst_unused:UNUSED_PAD src0_sel:DWORD src1_sel:WORD_1
	ds_read2_b32 v[54:55], v64 offset0:120 offset1:172
	v_fma_f16 v48, v48, v31, -v44
	s_waitcnt lgkmcnt(2)
	v_lshrrev_b32_e32 v44, 16, v50
	v_mul_f16_sdwa v46, v50, v24 dst_sel:DWORD dst_unused:UNUSED_PAD src0_sel:DWORD src1_sel:WORD_1
	v_fma_f16 v159, v44, v24, v46
	v_mul_f16_sdwa v44, v44, v24 dst_sel:DWORD dst_unused:UNUSED_PAD src0_sel:DWORD src1_sel:WORD_1
	v_fma_f16 v46, v50, v24, -v44
	s_waitcnt lgkmcnt(1)
	v_lshrrev_b32_e32 v44, 16, v52
	v_mul_f16_sdwa v50, v52, v25 dst_sel:DWORD dst_unused:UNUSED_PAD src0_sel:DWORD src1_sel:WORD_1
	v_fma_f16 v50, v44, v25, v50
	v_mul_f16_sdwa v44, v44, v25 dst_sel:DWORD dst_unused:UNUSED_PAD src0_sel:DWORD src1_sel:WORD_1
	;; [unrolled: 6-line block ×3, first 2 shown]
	v_fma_f16 v52, v54, v26, -v52
	v_add_f16_e32 v54, v162, v36
	v_add_f16_e32 v54, v54, v38
	;; [unrolled: 1-line block ×19, first 2 shown]
	v_sub_f16_e32 v172, v36, v52
	v_add_f16_e32 v54, v54, v50
	v_add_f16_e32 v142, v140, v149
	v_sub_f16_e32 v177, v140, v149
	v_mul_f16_e32 v152, 0xba95, v172
	v_add_f16_e32 v54, v54, v149
	v_add_f16_e32 v141, v36, v52
	v_mul_f16_e32 v151, 0xba95, v177
	v_fma_f16 v52, v142, s3, v152
	v_sub_f16_e32 v178, v143, v50
	v_add_f16_e32 v161, v54, v116
	v_fma_f16 v36, v141, s3, -v151
	v_add_f16_e32 v116, v52, v165
	v_add_f16_e32 v52, v38, v44
	v_sub_f16_e32 v173, v38, v44
	v_mul_f16_e32 v149, 0xbbf1, v178
	v_sub_f16_e32 v179, v145, v159
	v_add_f16_e32 v36, v36, v164
	v_add_f16_e32 v54, v143, v50
	v_fma_f16 v38, v52, s2, -v149
	v_mul_f16_e32 v150, 0xbbf1, v173
	v_add_f16_e32 v44, v40, v46
	v_sub_f16_e32 v174, v40, v46
	v_mul_f16_e32 v143, 0xbb7b, v179
	v_add_f16_e32 v36, v38, v36
	v_fma_f16 v38, v54, s2, v150
	v_add_f16_e32 v46, v145, v159
	v_fma_f16 v40, v44, s6, -v143
	v_mul_f16_e32 v145, 0xbb7b, v174
	v_add_f16_e32 v38, v38, v116
	v_add_f16_e32 v36, v40, v36
	v_fma_f16 v40, v46, s6, v145
	v_sub_f16_e32 v180, v153, v158
	v_add_f16_e32 v38, v40, v38
	v_add_f16_e32 v40, v42, v48
	v_sub_f16_e32 v175, v42, v48
	v_mul_f16_e32 v139, 0xb94e, v180
	v_add_f16_e32 v42, v153, v158
	v_fma_f16 v48, v40, s16, -v139
	v_mul_f16_e32 v140, 0xb94e, v175
	v_add_f16_e32 v50, v48, v36
	v_fma_f16 v36, v42, s16, v140
	v_sub_f16_e32 v181, v154, v156
	v_add_f16_e32 v116, v36, v38
	v_add_f16_e32 v36, v155, v157
	v_mul_f16_e32 v48, 0xb3a8, v181
	v_sub_f16_e32 v176, v155, v157
	v_fma_f16 v153, v36, s17, -v48
	v_add_f16_e32 v38, v154, v156
	v_add_f16_e32 v153, v153, v50
	v_mul_f16_e32 v50, 0xb3a8, v176
	v_fma_f16 v154, v38, s17, v50
	v_add_f16_e32 v154, v154, v116
	v_mov_b32_e32 v116, 0x152
	v_cndmask_b32_e32 v116, 0, v116, vcc
	v_add_lshl_u32 v116, v62, v116, 2
	v_pack_b32_f16 v62, v160, v161
	v_pack_b32_f16 v153, v153, v154
	v_mul_f16_e32 v168, 0xbb7b, v177
	s_waitcnt lgkmcnt(0)
	; wave barrier
	ds_write2_b32 v116, v62, v153 offset1:26
	v_fma_f16 v62, v141, s6, -v168
	v_mul_f16_e32 v169, 0xbb7b, v172
	v_mul_f16_e32 v170, 0xb3a8, v177
	;; [unrolled: 1-line block ×3, first 2 shown]
	v_add_f16_e32 v62, v62, v166
	v_fma_f16 v153, v142, s6, v169
	v_fma_f16 v154, v141, s17, -v170
	v_fma_f16 v156, v52, s17, -v164
	v_mul_f16_e32 v165, 0xb3a8, v173
	v_add_f16_e32 v153, v153, v167
	v_add_f16_e32 v154, v154, v171
	v_mul_f16_e32 v171, 0xb3a8, v172
	v_add_f16_e32 v62, v156, v62
	v_fma_f16 v156, v54, s17, v165
	v_mul_f16_e32 v166, 0x3b7b, v178
	v_fma_f16 v155, v142, s17, v171
	v_add_f16_e32 v153, v156, v153
	v_fma_f16 v156, v52, s6, -v166
	v_mul_f16_e32 v167, 0x3b7b, v173
	v_add_f16_e32 v155, v155, v182
	v_add_f16_e32 v154, v156, v154
	v_fma_f16 v156, v54, s6, v167
	v_mul_f16_e32 v160, 0x394e, v179
	v_add_f16_e32 v155, v156, v155
	v_fma_f16 v156, v44, s16, -v160
	v_mul_f16_e32 v161, 0x394e, v174
	v_add_f16_e32 v62, v156, v62
	v_fma_f16 v156, v46, s16, v161
	v_mul_f16_e32 v162, 0x3770, v179
	v_add_f16_e32 v153, v156, v153
	v_fma_f16 v156, v44, s7, -v162
	v_mul_f16_e32 v163, 0x3770, v174
	v_add_f16_e32 v154, v156, v154
	v_fma_f16 v156, v46, s7, v163
	v_add_f16_e32 v155, v156, v155
	v_mul_f16_e32 v156, 0x3bf1, v180
	v_fma_f16 v157, v40, s2, -v156
	v_add_f16_e32 v182, v157, v62
	v_mul_f16_e32 v157, 0x3bf1, v175
	v_fma_f16 v62, v42, s2, v157
	v_mul_f16_e32 v158, 0xba95, v180
	v_add_f16_e32 v187, v62, v153
	v_fma_f16 v62, v40, s3, -v158
	v_mul_f16_e32 v159, 0xba95, v175
	v_add_f16_e32 v188, v62, v154
	v_fma_f16 v62, v42, s3, v159
	v_add_f16_e32 v189, v62, v155
	v_mul_f16_e32 v62, 0x3770, v181
	v_fma_f16 v153, v36, s7, -v62
	v_add_f16_e32 v182, v153, v182
	v_mul_f16_e32 v153, 0x3770, v176
	v_fma_f16 v154, v38, s7, v153
	v_add_f16_e32 v187, v154, v187
	v_mul_f16_e32 v154, 0xb94e, v181
	v_fma_f16 v155, v36, s16, -v154
	v_add_f16_e32 v188, v155, v188
	v_mul_f16_e32 v155, 0xb94e, v176
	v_fma_f16 v190, v38, s16, v155
	v_add_f16_e32 v189, v190, v189
	v_pack_b32_f16 v182, v182, v187
	v_pack_b32_f16 v187, v188, v189
	ds_write2_b32 v116, v182, v187 offset0:52 offset1:78
	v_mul_f16_e32 v182, 0x394e, v177
	v_fma_f16 v187, v141, s16, -v182
	v_add_f16_e32 v187, v187, v183
	v_mul_f16_e32 v183, 0x394e, v172
	v_fma_f16 v188, v142, s16, v183
	v_add_f16_e32 v188, v188, v184
	v_mul_f16_e32 v184, 0x3bf1, v177
	v_fma_f16 v189, v141, s2, -v184
	v_add_f16_e32 v189, v189, v185
	v_mul_f16_e32 v185, 0x3bf1, v172
	v_fma_f16 v190, v142, s2, v185
	v_add_f16_e32 v190, v190, v186
	v_mul_f16_e32 v186, 0x3770, v178
	v_fma_f16 v191, v52, s7, -v186
	v_add_f16_e32 v191, v191, v187
	v_mul_f16_e32 v187, 0x3770, v173
	v_fma_f16 v192, v54, s7, v187
	v_add_f16_e32 v192, v192, v188
	v_mul_f16_e32 v188, 0xba95, v178
	v_fma_f16 v193, v52, s3, -v188
	v_add_f16_e32 v193, v193, v189
	v_mul_f16_e32 v189, 0xba95, v173
	v_fma_f16 v194, v54, s3, v189
	v_add_f16_e32 v194, v194, v190
	v_mul_f16_e32 v190, 0xbbf1, v179
	v_fma_f16 v195, v44, s2, -v190
	v_add_f16_e32 v195, v195, v191
	v_mul_f16_e32 v191, 0xbbf1, v174
	v_fma_f16 v196, v46, s2, v191
	v_add_f16_e32 v196, v196, v192
	v_mul_f16_e32 v192, 0x33a8, v179
	v_fma_f16 v197, v44, s17, -v192
	v_add_f16_e32 v197, v197, v193
	v_mul_f16_e32 v193, 0x33a8, v174
	v_fma_f16 v198, v46, s17, v193
	v_add_f16_e32 v198, v198, v194
	v_mul_f16_e32 v194, 0x33a8, v180
	v_fma_f16 v199, v40, s17, -v194
	v_add_f16_e32 v199, v199, v195
	v_mul_f16_e32 v195, 0x33a8, v175
	v_fma_f16 v200, v42, s17, v195
	v_add_f16_e32 v200, v200, v196
	v_mul_f16_e32 v196, 0x3770, v180
	v_fma_f16 v201, v40, s7, -v196
	v_add_f16_e32 v201, v201, v197
	v_mul_f16_e32 v197, 0x3770, v175
	v_fma_f16 v202, v42, s7, v197
	v_add_f16_e32 v202, v202, v198
	v_mul_f16_e32 v198, 0x3a95, v181
	v_fma_f16 v203, v36, s3, -v198
	v_add_f16_e32 v203, v203, v199
	v_mul_f16_e32 v199, 0x3a95, v176
	v_fma_f16 v204, v38, s3, v199
	v_add_f16_e32 v204, v204, v200
	v_mul_f16_e32 v200, 0xbb7b, v181
	v_fma_f16 v205, v36, s6, -v200
	v_add_f16_e32 v205, v205, v201
	v_mul_f16_e32 v201, 0xbb7b, v176
	v_fma_f16 v206, v38, s6, v201
	v_add_f16_e32 v202, v206, v202
	v_pack_b32_f16 v203, v203, v204
	v_pack_b32_f16 v202, v205, v202
	v_mul_f16_e32 v177, 0x3770, v177
	ds_write2_b32 v116, v203, v202 offset0:104 offset1:130
	v_fma_f16 v202, v141, s7, -v177
	v_mul_f16_e32 v172, 0x3770, v172
	v_add_f16_e32 v148, v202, v148
	v_fma_f16 v202, v142, s7, v172
	v_fma_f16 v172, v142, s7, -v172
	v_fma_f16 v177, v141, s7, v177
	v_add_f16_e32 v144, v172, v144
	v_mul_f16_e32 v172, 0xb94e, v178
	v_add_f16_e32 v146, v177, v146
	v_fma_f16 v177, v52, s16, -v172
	v_mul_f16_e32 v173, 0xb94e, v173
	v_fma_f16 v172, v52, s16, v172
	v_add_f16_e32 v146, v172, v146
	v_fma_f16 v172, v54, s16, -v173
	v_add_f16_e32 v144, v172, v144
	v_mul_f16_e32 v172, 0x3a95, v179
	v_add_f16_e32 v148, v177, v148
	v_fma_f16 v177, v54, s16, v173
	v_fma_f16 v173, v44, s3, -v172
	v_add_f16_e32 v148, v173, v148
	v_mul_f16_e32 v173, 0x3a95, v174
	v_fma_f16 v172, v44, s3, v172
	v_add_f16_e32 v146, v172, v146
	v_fma_f16 v172, v46, s3, -v173
	v_add_f16_e32 v144, v172, v144
	v_mul_f16_e32 v172, 0xbb7b, v180
	v_fma_f16 v174, v46, s3, v173
	v_fma_f16 v173, v40, s6, -v172
	v_add_f16_e32 v148, v173, v148
	v_mul_f16_e32 v173, 0xbb7b, v175
	v_fma_f16 v172, v40, s6, v172
	v_add_f16_e32 v147, v202, v147
	v_add_f16_e32 v146, v172, v146
	v_fma_f16 v172, v42, s6, -v173
	v_add_f16_e32 v147, v177, v147
	v_add_f16_e32 v144, v172, v144
	v_mul_f16_e32 v172, 0x3bf1, v181
	v_add_f16_e32 v147, v174, v147
	v_fma_f16 v174, v42, s6, v173
	v_fma_f16 v173, v36, s2, -v172
	v_add_f16_e32 v148, v173, v148
	v_mul_f16_e32 v173, 0x3bf1, v176
	v_fma_f16 v172, v36, s2, v172
	v_add_f16_e32 v147, v174, v147
	v_fma_f16 v174, v38, s2, v173
	v_add_f16_e32 v146, v172, v146
	v_fma_f16 v172, v38, s2, -v173
	v_add_f16_e32 v147, v174, v147
	v_add_f16_e32 v144, v172, v144
	v_pack_b32_f16 v147, v148, v147
	v_pack_b32_f16 v144, v146, v144
	ds_write2_b32 v116, v147, v144 offset0:156 offset1:182
	v_lshrrev_b32_e32 v144, 16, v37
	v_mul_f16_sdwa v146, v144, v17 dst_sel:DWORD dst_unused:UNUSED_PAD src0_sel:DWORD src1_sel:WORD_1
	v_fma_f16 v146, v37, v17, -v146
	v_mul_f16_sdwa v37, v37, v17 dst_sel:DWORD dst_unused:UNUSED_PAD src0_sel:DWORD src1_sel:WORD_1
	v_fma_f16 v37, v144, v17, v37
	v_lshrrev_b32_e32 v144, 16, v39
	v_mul_f16_sdwa v147, v144, v18 dst_sel:DWORD dst_unused:UNUSED_PAD src0_sel:DWORD src1_sel:WORD_1
	v_fma_f16 v147, v39, v18, -v147
	v_mul_f16_sdwa v39, v39, v18 dst_sel:DWORD dst_unused:UNUSED_PAD src0_sel:DWORD src1_sel:WORD_1
	v_fma_f16 v39, v144, v18, v39
	;; [unrolled: 5-line block ×3, first 2 shown]
	v_lshrrev_b32_e32 v144, 16, v43
	s_waitcnt vmcnt(0)
	v_mul_f16_sdwa v172, v144, v32 dst_sel:DWORD dst_unused:UNUSED_PAD src0_sel:DWORD src1_sel:WORD_1
	v_fma_f16 v172, v43, v32, -v172
	v_mul_f16_sdwa v43, v43, v32 dst_sel:DWORD dst_unused:UNUSED_PAD src0_sel:DWORD src1_sel:WORD_1
	v_fma_f16 v43, v144, v32, v43
	v_lshrrev_b32_e32 v144, 16, v45
	v_mul_f16_sdwa v173, v144, v33 dst_sel:DWORD dst_unused:UNUSED_PAD src0_sel:DWORD src1_sel:WORD_1
	v_fma_f16 v173, v45, v33, -v173
	v_mul_f16_sdwa v45, v45, v33 dst_sel:DWORD dst_unused:UNUSED_PAD src0_sel:DWORD src1_sel:WORD_1
	v_fma_f16 v45, v144, v33, v45
	v_lshrrev_b32_e32 v144, 16, v47
	;; [unrolled: 5-line block ×6, first 2 shown]
	v_mul_f16_sdwa v178, v144, v22 dst_sel:DWORD dst_unused:UNUSED_PAD src0_sel:DWORD src1_sel:WORD_1
	v_fma_f16 v178, v55, v22, -v178
	v_mul_f16_sdwa v55, v55, v22 dst_sel:DWORD dst_unused:UNUSED_PAD src0_sel:DWORD src1_sel:WORD_1
	v_fma_f16 v55, v144, v22, v55
	v_fma_f16 v144, v141, s3, v151
	v_add_f16_e32 v134, v144, v134
	v_fma_f16 v144, v142, s3, -v152
	v_add_f16_e32 v129, v144, v129
	v_fma_f16 v144, v141, s6, v168
	v_add_f16_e32 v135, v144, v135
	v_fma_f16 v144, v142, s6, -v169
	v_add_f16_e32 v130, v144, v130
	;; [unrolled: 4-line block ×3, first 2 shown]
	v_fma_f16 v144, v141, s16, v182
	v_fma_f16 v141, v141, s2, v184
	v_add_f16_e32 v138, v141, v138
	v_fma_f16 v141, v142, s2, -v185
	v_add_f16_e32 v133, v141, v133
	v_fma_f16 v141, v52, s2, v149
	v_add_f16_e32 v134, v141, v134
	v_fma_f16 v141, v54, s2, -v150
	v_add_f16_e32 v129, v141, v129
	;; [unrolled: 4-line block ×4, first 2 shown]
	v_add_f16_e32 v131, v141, v131
	v_fma_f16 v141, v52, s7, v186
	v_add_f16_e32 v137, v141, v137
	v_fma_f16 v141, v54, s7, -v187
	v_fma_f16 v54, v54, s3, -v189
	v_add_f16_e32 v54, v54, v133
	v_fma_f16 v133, v44, s6, v143
	v_add_f16_e32 v133, v133, v134
	v_fma_f16 v134, v46, s6, -v145
	v_add_f16_e32 v129, v134, v129
	v_fma_f16 v134, v44, s16, v160
	v_add_f16_e32 v134, v134, v135
	;; [unrolled: 4-line block ×3, first 2 shown]
	v_fma_f16 v136, v46, s7, -v163
	v_fma_f16 v52, v52, s3, v188
	v_add_f16_e32 v131, v136, v131
	v_fma_f16 v136, v44, s2, v190
	v_add_f16_e32 v52, v52, v138
	v_add_f16_e32 v136, v136, v137
	v_fma_f16 v137, v46, s2, -v191
	v_fma_f16 v44, v44, s17, v192
	v_fma_f16 v46, v46, s17, -v193
	v_add_f16_e32 v44, v44, v52
	v_add_f16_e32 v46, v46, v54
	v_fma_f16 v52, v40, s16, v139
	v_fma_f16 v54, v42, s16, -v140
	v_add_f16_e32 v52, v52, v133
	v_add_f16_e32 v54, v54, v129
	;; [unrolled: 4-line block ×4, first 2 shown]
	v_fma_f16 v134, v40, s17, v194
	v_fma_f16 v135, v42, s17, -v195
	v_fma_f16 v40, v40, s7, v196
	v_fma_f16 v42, v42, s7, -v197
	v_add_f16_e32 v40, v40, v44
	v_add_f16_e32 v42, v42, v46
	v_fma_f16 v44, v36, s17, v48
	v_fma_f16 v46, v38, s17, -v50
	v_fma_f16 v48, v36, s7, v62
	v_add_f16_e32 v46, v46, v54
	v_add_f16_e32 v48, v48, v129
	v_fma_f16 v50, v38, s7, -v153
	v_fma_f16 v54, v38, s16, -v155
	;; [unrolled: 1-line block ×4, first 2 shown]
	v_add_f16_e32 v44, v44, v52
	v_fma_f16 v52, v36, s16, v154
	v_fma_f16 v62, v36, s3, v198
	;; [unrolled: 1-line block ×3, first 2 shown]
	v_add_f16_e32 v38, v38, v42
	v_add_f16_e32 v42, v127, v37
	;; [unrolled: 1-line block ×22, first 2 shown]
	v_sub_f16_e32 v37, v37, v55
	v_fma_f16 v144, v142, s16, -v183
	v_add_f16_e32 v40, v40, v178
	v_add_f16_e32 v42, v42, v63
	;; [unrolled: 1-line block ×3, first 2 shown]
	v_mul_f16_e32 v55, 0xba95, v37
	v_add_f16_e32 v132, v144, v132
	v_add_f16_e32 v40, v40, v66
	v_sub_f16_e32 v66, v146, v178
	v_fma_f16 v128, v63, s3, -v55
	v_add_f16_e32 v132, v141, v132
	v_add_f16_e32 v126, v128, v126
	v_mul_f16_e32 v128, 0xba95, v66
	v_fma_f16 v55, v63, s3, v55
	v_add_f16_e32 v132, v137, v132
	v_add_f16_e32 v55, v55, v124
	v_fma_f16 v124, v127, s3, -v128
	v_add_f16_e32 v132, v135, v132
	v_add_f16_e32 v123, v124, v123
	v_mul_f16_e32 v124, 0xbb7b, v37
	v_add_f16_e32 v52, v52, v133
	v_add_f16_e32 v133, v129, v132
	v_fma_f16 v129, v127, s3, v128
	v_fma_f16 v128, v63, s6, -v124
	v_add_f16_e32 v122, v128, v122
	v_mul_f16_e32 v128, 0xbb7b, v66
	v_fma_f16 v124, v63, s6, v124
	v_add_f16_e32 v120, v124, v120
	v_fma_f16 v124, v127, s6, -v128
	v_add_f16_e32 v119, v124, v119
	v_mul_f16_e32 v124, 0xb3a8, v37
	v_add_f16_e32 v125, v129, v125
	v_fma_f16 v129, v127, s6, v128
	v_fma_f16 v128, v63, s17, -v124
	v_add_f16_e32 v117, v128, v117
	v_mul_f16_e32 v128, 0xb3a8, v66
	v_fma_f16 v124, v63, s17, v124
	v_add_f16_e32 v80, v124, v80
	v_fma_f16 v124, v127, s17, -v128
	v_add_f16_e32 v79, v124, v79
	v_mul_f16_e32 v124, 0x394e, v37
	;; [unrolled: 10-line block ×3, first 2 shown]
	v_add_f16_e32 v81, v129, v81
	v_fma_f16 v129, v127, s16, v128
	v_fma_f16 v128, v63, s2, -v124
	v_add_f16_e32 v74, v128, v74
	v_mul_f16_e32 v128, 0x3bf1, v66
	v_fma_f16 v124, v63, s2, v124
	v_add_f16_e32 v72, v124, v72
	v_fma_f16 v124, v127, s2, -v128
	v_mul_f16_e32 v37, 0x3770, v37
	v_add_f16_e32 v71, v124, v71
	v_fma_f16 v124, v63, s7, -v37
	v_fma_f16 v37, v63, s7, v37
	v_mul_f16_e32 v66, 0x3770, v66
	v_add_f16_e32 v37, v37, v68
	v_add_f16_e32 v68, v39, v53
	v_sub_f16_e32 v39, v39, v53
	v_add_f16_e32 v70, v124, v70
	v_fma_f16 v124, v127, s7, v66
	v_fma_f16 v63, v127, s7, -v66
	v_add_f16_e32 v66, v147, v177
	v_mul_f16_e32 v53, 0xbbf1, v39
	v_add_f16_e32 v69, v124, v69
	v_add_f16_e32 v63, v63, v67
	v_sub_f16_e32 v67, v147, v177
	v_fma_f16 v124, v66, s2, -v53
	v_add_f16_e32 v124, v124, v126
	v_mul_f16_e32 v126, 0xbbf1, v67
	v_fma_f16 v53, v66, s2, v53
	v_add_f16_e32 v53, v53, v55
	v_fma_f16 v55, v68, s2, -v126
	v_add_f16_e32 v55, v55, v123
	v_mul_f16_e32 v123, 0xb3a8, v39
	v_add_f16_e32 v77, v129, v77
	v_fma_f16 v129, v127, s2, v128
	v_fma_f16 v127, v68, s2, v126
	v_fma_f16 v126, v66, s17, -v123
	v_add_f16_e32 v122, v126, v122
	v_mul_f16_e32 v126, 0xb3a8, v67
	v_fma_f16 v123, v66, s17, v123
	v_add_f16_e32 v120, v123, v120
	v_fma_f16 v123, v68, s17, -v126
	v_add_f16_e32 v119, v123, v119
	v_mul_f16_e32 v123, 0x3b7b, v39
	v_add_f16_e32 v125, v127, v125
	v_fma_f16 v127, v68, s17, v126
	v_fma_f16 v126, v66, s6, -v123
	v_add_f16_e32 v117, v126, v117
	v_mul_f16_e32 v126, 0x3b7b, v67
	v_fma_f16 v123, v66, s6, v123
	v_add_f16_e32 v80, v123, v80
	v_fma_f16 v123, v68, s6, -v126
	v_add_f16_e32 v79, v123, v79
	v_mul_f16_e32 v123, 0x3770, v39
	v_add_f16_e32 v121, v127, v121
	;; [unrolled: 10-line block ×3, first 2 shown]
	v_fma_f16 v127, v68, s7, v126
	v_fma_f16 v126, v66, s3, -v123
	v_add_f16_e32 v74, v126, v74
	v_mul_f16_e32 v126, 0xba95, v67
	v_fma_f16 v123, v66, s3, v123
	v_add_f16_e32 v72, v123, v72
	v_fma_f16 v123, v68, s3, -v126
	v_mul_f16_e32 v39, 0xb94e, v39
	v_add_f16_e32 v71, v123, v71
	v_fma_f16 v123, v66, s16, -v39
	v_mul_f16_e32 v67, 0xb94e, v67
	v_fma_f16 v39, v66, s16, v39
	v_add_f16_e32 v70, v123, v70
	v_fma_f16 v123, v68, s16, v67
	v_add_f16_e32 v37, v39, v37
	v_fma_f16 v39, v68, s16, -v67
	v_add_f16_e32 v67, v41, v51
	v_sub_f16_e32 v41, v41, v51
	v_add_f16_e32 v39, v39, v63
	v_add_f16_e32 v63, v148, v176
	v_sub_f16_e32 v66, v148, v176
	v_mul_f16_e32 v51, 0xbb7b, v41
	v_add_f16_e32 v77, v127, v77
	v_fma_f16 v127, v68, s3, v126
	v_add_f16_e32 v69, v123, v69
	v_fma_f16 v68, v63, s6, -v51
	v_mul_f16_e32 v123, 0xbb7b, v66
	v_fma_f16 v51, v63, s6, v51
	v_add_f16_e32 v51, v51, v53
	v_fma_f16 v53, v67, s6, -v123
	v_add_f16_e32 v53, v53, v55
	v_mul_f16_e32 v55, 0x394e, v41
	v_add_f16_e32 v68, v68, v124
	v_fma_f16 v124, v67, s6, v123
	v_fma_f16 v123, v63, s16, -v55
	v_add_f16_e32 v122, v123, v122
	v_mul_f16_e32 v123, 0x394e, v66
	v_fma_f16 v55, v63, s16, v55
	v_add_f16_e32 v55, v55, v120
	v_fma_f16 v120, v67, s16, -v123
	v_add_f16_e32 v119, v120, v119
	v_mul_f16_e32 v120, 0x3770, v41
	v_add_f16_e32 v124, v124, v125
	v_fma_f16 v125, v67, s16, v123
	v_fma_f16 v123, v63, s7, -v120
	v_add_f16_e32 v117, v123, v117
	;; [unrolled: 10-line block ×4, first 2 shown]
	v_mul_f16_e32 v123, 0x33a8, v66
	v_fma_f16 v120, v63, s17, v120
	v_add_f16_e32 v72, v120, v72
	v_fma_f16 v120, v67, s17, -v123
	v_mul_f16_e32 v41, 0x3a95, v41
	v_add_f16_e32 v71, v120, v71
	v_fma_f16 v120, v63, s3, -v41
	v_mul_f16_e32 v66, 0x3a95, v66
	v_fma_f16 v41, v63, s3, v41
	v_add_f16_e32 v70, v120, v70
	v_fma_f16 v120, v67, s3, v66
	v_add_f16_e32 v37, v41, v37
	v_fma_f16 v41, v67, s3, -v66
	v_add_f16_e32 v66, v43, v49
	v_sub_f16_e32 v43, v43, v49
	v_add_f16_e32 v39, v41, v39
	v_add_f16_e32 v41, v172, v175
	v_mul_f16_e32 v49, 0xb94e, v43
	v_add_f16_e32 v77, v125, v77
	v_fma_f16 v125, v67, s17, v123
	v_sub_f16_e32 v63, v172, v175
	v_fma_f16 v67, v41, s16, -v49
	v_add_f16_e32 v67, v67, v68
	v_mul_f16_e32 v68, 0xb94e, v63
	v_fma_f16 v49, v41, s16, v49
	v_add_f16_e32 v49, v49, v51
	v_fma_f16 v51, v66, s16, -v68
	v_add_f16_e32 v51, v51, v53
	v_mul_f16_e32 v53, 0x3bf1, v43
	v_add_f16_e32 v69, v120, v69
	v_fma_f16 v120, v66, s16, v68
	v_fma_f16 v68, v41, s2, -v53
	v_add_f16_e32 v68, v68, v122
	v_mul_f16_e32 v122, 0x3bf1, v63
	v_fma_f16 v53, v41, s2, v53
	v_add_f16_e32 v53, v53, v55
	v_fma_f16 v55, v66, s2, -v122
	v_add_f16_e32 v55, v55, v119
	v_mul_f16_e32 v119, 0xba95, v43
	v_fma_f16 v123, v66, s2, v122
	v_fma_f16 v122, v41, s3, -v119
	v_add_f16_e32 v117, v122, v117
	v_mul_f16_e32 v122, 0xba95, v63
	v_fma_f16 v119, v41, s3, v119
	v_add_f16_e32 v80, v119, v80
	v_fma_f16 v119, v66, s3, -v122
	v_add_f16_e32 v79, v119, v79
	v_mul_f16_e32 v119, 0x33a8, v43
	v_add_f16_e32 v121, v123, v121
	v_fma_f16 v123, v66, s3, v122
	v_fma_f16 v122, v41, s17, -v119
	v_add_f16_e32 v78, v122, v78
	v_mul_f16_e32 v122, 0x33a8, v63
	v_fma_f16 v119, v41, s17, v119
	v_add_f16_e32 v76, v119, v76
	v_fma_f16 v119, v66, s17, -v122
	v_add_f16_e32 v75, v119, v75
	v_mul_f16_e32 v119, 0x3770, v43
	v_add_f16_e32 v81, v123, v81
	v_fma_f16 v123, v66, s17, v122
	v_fma_f16 v122, v41, s7, -v119
	v_add_f16_e32 v74, v122, v74
	v_mul_f16_e32 v122, 0x3770, v63
	v_fma_f16 v119, v41, s7, v119
	v_add_f16_e32 v72, v119, v72
	v_fma_f16 v119, v66, s7, -v122
	v_mul_f16_e32 v43, 0xbb7b, v43
	v_add_f16_e32 v71, v119, v71
	v_fma_f16 v119, v41, s6, -v43
	v_mul_f16_e32 v63, 0xbb7b, v63
	v_fma_f16 v41, v41, s6, v43
	v_add_f16_e32 v70, v119, v70
	v_fma_f16 v119, v66, s6, v63
	v_add_f16_e32 v37, v41, v37
	v_fma_f16 v41, v66, s6, -v63
	v_add_f16_e32 v63, v45, v47
	v_sub_f16_e32 v45, v45, v47
	v_add_f16_e32 v39, v41, v39
	v_add_f16_e32 v41, v173, v174
	v_mul_f16_e32 v47, 0xb3a8, v45
	v_add_f16_e32 v77, v123, v77
	v_fma_f16 v123, v66, s7, v122
	v_sub_f16_e32 v43, v173, v174
	v_fma_f16 v66, v41, s17, -v47
	v_add_f16_e32 v66, v66, v67
	v_mul_f16_e32 v67, 0xb3a8, v43
	v_fma_f16 v47, v41, s17, v47
	v_add_f16_e32 v54, v54, v131
	v_add_f16_e32 v131, v47, v49
	v_fma_f16 v47, v63, s17, -v67
	v_add_f16_e32 v132, v47, v51
	v_mul_f16_e32 v47, 0x3770, v45
	v_fma_f16 v49, v41, s7, -v47
	v_mul_f16_e32 v51, 0x3770, v43
	v_fma_f16 v47, v41, s7, v47
	v_add_f16_e32 v73, v129, v73
	v_add_f16_e32 v129, v47, v53
	v_fma_f16 v47, v63, s7, -v51
	v_mul_f16_e32 v53, 0xb94e, v43
	v_add_f16_e32 v50, v50, v130
	v_add_f16_e32 v49, v49, v68
	;; [unrolled: 1-line block ×3, first 2 shown]
	v_fma_f16 v55, v63, s16, v53
	v_fma_f16 v53, v63, s16, -v53
	v_mul_f16_e32 v68, 0x3a95, v45
	v_add_f16_e32 v53, v53, v79
	v_fma_f16 v79, v41, s3, -v68
	v_add_f16_e32 v78, v79, v78
	v_mul_f16_e32 v79, 0x3a95, v43
	v_fma_f16 v68, v41, s3, v68
	v_mul_f16_e32 v47, 0xb94e, v45
	v_add_f16_e32 v68, v68, v76
	v_fma_f16 v76, v63, s3, -v79
	v_add_f16_e32 v69, v119, v69
	v_fma_f16 v119, v63, s17, v67
	v_fma_f16 v67, v63, s7, v51
	v_fma_f16 v51, v41, s16, -v47
	v_fma_f16 v47, v41, s16, v47
	v_add_f16_e32 v75, v76, v75
	v_mul_f16_e32 v76, 0xbb7b, v45
	v_add_f16_e32 v47, v47, v80
	v_fma_f16 v80, v63, s3, v79
	v_fma_f16 v79, v41, s6, -v76
	v_add_f16_e32 v74, v79, v74
	v_mul_f16_e32 v79, 0xbb7b, v43
	v_fma_f16 v76, v41, s6, v76
	v_add_f16_e32 v134, v134, v136
	v_add_f16_e32 v72, v76, v72
	v_fma_f16 v76, v63, s6, -v79
	v_mul_f16_e32 v45, 0x3bf1, v45
	v_add_f16_e32 v62, v62, v134
	v_add_f16_e32 v71, v76, v71
	v_fma_f16 v76, v41, s2, -v45
	v_mul_f16_e32 v43, 0x3bf1, v43
	v_fma_f16 v41, v41, s2, v45
	v_add_f16_e32 v37, v41, v37
	v_fma_f16 v41, v63, s2, -v43
	v_pack_b32_f16 v36, v36, v38
	v_pack_b32_f16 v38, v62, v133
	v_add_f16_e32 v39, v41, v39
	ds_write2_b32 v116, v36, v38 offset0:208 offset1:234
	v_pack_b32_f16 v36, v52, v54
	v_pack_b32_f16 v38, v48, v50
	v_add_u32_e32 v41, 0x400, v116
	v_add_f16_e32 v73, v127, v73
	v_add_f16_e32 v120, v120, v124
	ds_write2_b32 v41, v36, v38 offset0:4 offset1:30
	v_pack_b32_f16 v36, v44, v46
	v_add_f16_e32 v73, v125, v73
	v_add_f16_e32 v119, v119, v120
	ds_write_b32 v116, v36 offset:1248
	v_mul_u32_u24_e32 v36, 0x152, v60
	v_add_f16_e32 v73, v123, v73
	v_add_f16_e32 v67, v67, v121
	;; [unrolled: 1-line block ×5, first 2 shown]
	v_fma_f16 v80, v63, s6, v79
	v_add_lshl_u32 v117, v36, v61, 2
	v_pack_b32_f16 v36, v40, v42
	v_pack_b32_f16 v38, v66, v119
	v_add_f16_e32 v73, v80, v73
	v_add_f16_e32 v70, v76, v70
	v_fma_f16 v76, v63, s2, v43
	ds_write2_b32 v117, v36, v38 offset1:26
	v_pack_b32_f16 v36, v49, v67
	v_pack_b32_f16 v38, v51, v55
	v_add_f16_e32 v69, v76, v69
	ds_write2_b32 v117, v36, v38 offset0:52 offset1:78
	v_pack_b32_f16 v36, v78, v77
	v_pack_b32_f16 v38, v74, v73
	ds_write2_b32 v117, v36, v38 offset0:104 offset1:130
	v_pack_b32_f16 v36, v70, v69
	v_pack_b32_f16 v37, v37, v39
	ds_write2_b32 v117, v36, v37 offset0:156 offset1:182
	v_pack_b32_f16 v36, v72, v71
	v_pack_b32_f16 v37, v68, v75
	ds_write2_b32 v117, v36, v37 offset0:208 offset1:234
	v_pack_b32_f16 v36, v47, v53
	v_pack_b32_f16 v37, v129, v130
	v_add_u32_e32 v38, 0x400, v117
	ds_write2_b32 v38, v36, v37 offset0:4 offset1:30
	v_pack_b32_f16 v36, v131, v132
	ds_write_b32 v117, v36 offset:1248
	v_add_u32_e32 v36, 0xe00, v82
	s_waitcnt lgkmcnt(0)
	; wave barrier
	s_waitcnt lgkmcnt(0)
	ds_read2_b32 v[62:63], v82 offset1:52
	ds_read2_b32 v[76:77], v59 offset0:82 offset1:134
	ds_read2_b32 v[78:79], v65 offset0:164 offset1:216
	;; [unrolled: 1-line block ×11, first 2 shown]
	s_load_dwordx2 s[2:3], s[4:5], 0x38
	s_and_saveexec_b64 s[4:5], vcc
	s_xor_b64 s[4:5], exec, s[4:5]
	s_or_saveexec_b64 s[4:5], s[4:5]
	v_add_u32_e32 v36, 0x138, v108
                                        ; implicit-def: $vgpr133
                                        ; implicit-def: $vgpr135
                                        ; implicit-def: $vgpr134
                                        ; implicit-def: $vgpr136
	s_xor_b64 exec, exec, s[4:5]
	s_cbranch_execz .LBB0_3
; %bb.2:
	ds_read_b32 v129, v82 offset:1248
	ds_read_b32 v131, v82 offset:2600
	;; [unrolled: 1-line block ×4, first 2 shown]
	v_mov_b32_e32 v118, v36
	s_waitcnt lgkmcnt(0)
	v_lshrrev_b32_e32 v130, 16, v129
	v_lshrrev_b32_e32 v132, 16, v131
	;; [unrolled: 1-line block ×4, first 2 shown]
.LBB0_3:
	s_or_b64 exec, exec, s[4:5]
	v_mad_u64_u32 v[37:38], s[4:5], v108, 12, s[14:15]
	s_movk_i32 s6, 0x1000
	v_lshlrev_b32_e32 v121, 3, v36
	global_load_dwordx3 v[39:41], v[37:38], off offset:1344
	global_load_dwordx3 v[42:44], v[37:38], off offset:1968
	;; [unrolled: 1-line block ×5, first 2 shown]
	v_add_co_u32_e32 v36, vcc, s6, v37
	v_addc_co_u32_e32 v37, vcc, 0, v38, vcc
	global_load_dwordx3 v[54:56], v[36:37], off offset:368
	v_mul_i32_i24_e32 v36, 12, v118
	v_mul_hi_i32_i24_e32 v37, 12, v118
	v_mov_b32_e32 v38, s15
	v_add_co_u32_e32 v36, vcc, s14, v36
	v_addc_co_u32_e32 v37, vcc, v38, v37, vcc
	global_load_dwordx3 v[36:38], v[36:37], off offset:1344
	s_waitcnt lgkmcnt(0)
	v_lshrrev_b32_e32 v138, 16, v76
	v_lshrrev_b32_e32 v147, 16, v72
	v_lshrrev_b32_e32 v148, 16, v70
	v_lshrrev_b32_e32 v150, 16, v75
	v_lshrrev_b32_e32 v151, 16, v73
	v_lshrrev_b32_e32 v152, 16, v71
	v_lshrrev_b32_e32 v118, 16, v68
	v_lshrrev_b32_e32 v154, 16, v66
	v_lshrrev_b32_e32 v155, 16, v64
	v_lshrrev_b32_e32 v157, 16, v69
	v_lshrrev_b32_e32 v158, 16, v67
	v_lshrrev_b32_e32 v159, 16, v65
	v_lshrrev_b32_e32 v139, 16, v78
	v_lshrrev_b32_e32 v140, 16, v80
	v_lshrrev_b32_e32 v142, 16, v77
	v_lshrrev_b32_e32 v143, 16, v79
	v_lshrrev_b32_e32 v144, 16, v81
	v_lshrrev_b32_e32 v137, 16, v62
	v_lshrrev_b32_e32 v141, 16, v63
	v_lshrrev_b32_e32 v146, 16, v74
	v_lshrrev_b32_e32 v145, 16, v60
	v_lshrrev_b32_e32 v149, 16, v61
	v_lshrrev_b32_e32 v153, 16, v58
	v_lshrrev_b32_e32 v156, 16, v59
	v_add_u32_e32 v128, 0x340, v113
	v_add_u32_e32 v126, 0x4e0, v113
	;; [unrolled: 1-line block ×10, first 2 shown]
	s_waitcnt vmcnt(6)
	v_mul_f16_sdwa v160, v138, v39 dst_sel:DWORD dst_unused:UNUSED_PAD src0_sel:DWORD src1_sel:WORD_1
	v_mul_f16_sdwa v161, v76, v39 dst_sel:DWORD dst_unused:UNUSED_PAD src0_sel:DWORD src1_sel:WORD_1
	s_waitcnt vmcnt(4)
	v_mul_f16_sdwa v174, v147, v46 dst_sel:DWORD dst_unused:UNUSED_PAD src0_sel:DWORD src1_sel:WORD_1
	v_fma_f16 v76, v76, v39, -v160
	v_fma_f16 v160, v72, v46, -v174
	v_mul_f16_sdwa v72, v72, v46 dst_sel:DWORD dst_unused:UNUSED_PAD src0_sel:DWORD src1_sel:WORD_1
	v_fma_f16 v72, v147, v46, v72
	v_mul_f16_sdwa v147, v148, v47 dst_sel:DWORD dst_unused:UNUSED_PAD src0_sel:DWORD src1_sel:WORD_1
	v_fma_f16 v147, v70, v47, -v147
	v_mul_f16_sdwa v70, v70, v47 dst_sel:DWORD dst_unused:UNUSED_PAD src0_sel:DWORD src1_sel:WORD_1
	v_fma_f16 v70, v148, v47, v70
	s_waitcnt vmcnt(3)
	v_mul_f16_sdwa v148, v150, v48 dst_sel:DWORD dst_unused:UNUSED_PAD src0_sel:DWORD src1_sel:WORD_1
	v_fma_f16 v148, v75, v48, -v148
	v_mul_f16_sdwa v75, v75, v48 dst_sel:DWORD dst_unused:UNUSED_PAD src0_sel:DWORD src1_sel:WORD_1
	v_fma_f16 v75, v150, v48, v75
	v_mul_f16_sdwa v150, v151, v49 dst_sel:DWORD dst_unused:UNUSED_PAD src0_sel:DWORD src1_sel:WORD_1
	v_fma_f16 v150, v73, v49, -v150
	v_mul_f16_sdwa v73, v73, v49 dst_sel:DWORD dst_unused:UNUSED_PAD src0_sel:DWORD src1_sel:WORD_1
	v_fma_f16 v73, v151, v49, v73
	v_mul_f16_sdwa v151, v152, v50 dst_sel:DWORD dst_unused:UNUSED_PAD src0_sel:DWORD src1_sel:WORD_1
	v_fma_f16 v151, v71, v50, -v151
	v_mul_f16_sdwa v71, v71, v50 dst_sel:DWORD dst_unused:UNUSED_PAD src0_sel:DWORD src1_sel:WORD_1
	v_fma_f16 v71, v152, v50, v71
	s_waitcnt vmcnt(2)
	v_mul_f16_sdwa v152, v118, v51 dst_sel:DWORD dst_unused:UNUSED_PAD src0_sel:DWORD src1_sel:WORD_1
	v_fma_f16 v152, v68, v51, -v152
	v_mul_f16_sdwa v68, v68, v51 dst_sel:DWORD dst_unused:UNUSED_PAD src0_sel:DWORD src1_sel:WORD_1
	v_fma_f16 v68, v118, v51, v68
	v_mul_f16_sdwa v118, v154, v52 dst_sel:DWORD dst_unused:UNUSED_PAD src0_sel:DWORD src1_sel:WORD_1
	;; [unrolled: 13-line block ×3, first 2 shown]
	v_fma_f16 v157, v67, v55, -v157
	v_mul_f16_sdwa v67, v67, v55 dst_sel:DWORD dst_unused:UNUSED_PAD src0_sel:DWORD src1_sel:WORD_1
	v_fma_f16 v67, v158, v55, v67
	v_mul_f16_sdwa v158, v159, v56 dst_sel:DWORD dst_unused:UNUSED_PAD src0_sel:DWORD src1_sel:WORD_1
	v_fma_f16 v158, v65, v56, -v158
	v_mul_f16_sdwa v65, v65, v56 dst_sel:DWORD dst_unused:UNUSED_PAD src0_sel:DWORD src1_sel:WORD_1
	v_fma_f16 v65, v159, v56, v65
	s_waitcnt vmcnt(0)
	v_mul_f16_sdwa v159, v132, v36 dst_sel:DWORD dst_unused:UNUSED_PAD src0_sel:DWORD src1_sel:WORD_1
	v_mul_f16_sdwa v162, v139, v40 dst_sel:DWORD dst_unused:UNUSED_PAD src0_sel:DWORD src1_sel:WORD_1
	v_mul_f16_sdwa v164, v140, v41 dst_sel:DWORD dst_unused:UNUSED_PAD src0_sel:DWORD src1_sel:WORD_1
	v_fma_f16 v159, v131, v36, -v159
	v_mul_f16_sdwa v131, v131, v36 dst_sel:DWORD dst_unused:UNUSED_PAD src0_sel:DWORD src1_sel:WORD_1
	v_mul_f16_sdwa v163, v78, v40 dst_sel:DWORD dst_unused:UNUSED_PAD src0_sel:DWORD src1_sel:WORD_1
	;; [unrolled: 1-line block ×3, first 2 shown]
	v_fma_f16 v78, v78, v40, -v162
	v_fma_f16 v80, v80, v41, -v164
	v_fma_f16 v131, v132, v36, v131
	v_mul_f16_sdwa v132, v136, v37 dst_sel:DWORD dst_unused:UNUSED_PAD src0_sel:DWORD src1_sel:WORD_1
	v_fma_f16 v132, v134, v37, -v132
	v_mul_f16_sdwa v134, v134, v37 dst_sel:DWORD dst_unused:UNUSED_PAD src0_sel:DWORD src1_sel:WORD_1
	v_sub_f16_e32 v78, v62, v78
	v_sub_f16_e32 v80, v76, v80
	v_mul_f16_sdwa v166, v142, v42 dst_sel:DWORD dst_unused:UNUSED_PAD src0_sel:DWORD src1_sel:WORD_1
	v_mul_f16_sdwa v168, v143, v43 dst_sel:DWORD dst_unused:UNUSED_PAD src0_sel:DWORD src1_sel:WORD_1
	;; [unrolled: 1-line block ×3, first 2 shown]
	v_fma_f16 v134, v136, v37, v134
	v_mul_f16_sdwa v136, v135, v38 dst_sel:DWORD dst_unused:UNUSED_PAD src0_sel:DWORD src1_sel:WORD_1
	v_fma_f16 v62, v62, 2.0, -v78
	v_fma_f16 v76, v76, 2.0, -v80
	v_mul_f16_sdwa v167, v77, v42 dst_sel:DWORD dst_unused:UNUSED_PAD src0_sel:DWORD src1_sel:WORD_1
	v_mul_f16_sdwa v169, v79, v43 dst_sel:DWORD dst_unused:UNUSED_PAD src0_sel:DWORD src1_sel:WORD_1
	;; [unrolled: 1-line block ×3, first 2 shown]
	v_fma_f16 v138, v138, v39, v161
	v_fma_f16 v139, v139, v40, v163
	;; [unrolled: 1-line block ×3, first 2 shown]
	v_fma_f16 v77, v77, v42, -v166
	v_fma_f16 v79, v79, v43, -v168
	;; [unrolled: 1-line block ×4, first 2 shown]
	v_mul_f16_sdwa v133, v133, v38 dst_sel:DWORD dst_unused:UNUSED_PAD src0_sel:DWORD src1_sel:WORD_1
	v_sub_f16_e32 v76, v62, v76
	v_fma_f16 v133, v135, v38, v133
	v_sub_f16_e32 v135, v137, v139
	v_sub_f16_e32 v139, v138, v140
	v_fma_f16 v140, v62, 2.0, -v76
	v_sub_f16_e32 v62, v63, v79
	v_sub_f16_e32 v81, v77, v81
	v_fma_f16 v142, v142, v42, v167
	v_fma_f16 v143, v143, v43, v169
	;; [unrolled: 1-line block ×3, first 2 shown]
	v_fma_f16 v63, v63, 2.0, -v62
	v_fma_f16 v77, v77, 2.0, -v81
	v_mul_f16_sdwa v172, v146, v45 dst_sel:DWORD dst_unused:UNUSED_PAD src0_sel:DWORD src1_sel:WORD_1
	v_sub_f16_e32 v79, v141, v143
	v_sub_f16_e32 v143, v142, v144
	;; [unrolled: 1-line block ×3, first 2 shown]
	v_mul_f16_sdwa v173, v74, v45 dst_sel:DWORD dst_unused:UNUSED_PAD src0_sel:DWORD src1_sel:WORD_1
	v_fma_f16 v74, v74, v45, -v172
	v_fma_f16 v142, v142, 2.0, -v143
	v_fma_f16 v144, v63, 2.0, -v77
	v_sub_f16_e32 v143, v62, v143
	v_sub_f16_e32 v63, v145, v72
	v_fma_f16 v146, v146, v45, v173
	v_fma_f16 v161, v62, 2.0, -v143
	v_sub_f16_e32 v62, v60, v160
	v_fma_f16 v72, v145, 2.0, -v63
	v_sub_f16_e32 v145, v74, v147
	v_fma_f16 v60, v60, 2.0, -v62
	v_sub_f16_e32 v70, v146, v70
	v_fma_f16 v74, v74, 2.0, -v145
	v_sub_f16_e32 v74, v60, v74
	v_sub_f16_e32 v160, v62, v70
	v_fma_f16 v146, v146, 2.0, -v70
	v_fma_f16 v147, v60, 2.0, -v74
	v_add_f16_e32 v145, v63, v145
	v_fma_f16 v162, v62, 2.0, -v160
	v_sub_f16_e32 v60, v61, v150
	v_sub_f16_e32 v62, v149, v73
	;; [unrolled: 1-line block ×4, first 2 shown]
	v_fma_f16 v163, v63, 2.0, -v145
	v_fma_f16 v61, v61, 2.0, -v60
	;; [unrolled: 1-line block ×5, first 2 shown]
	v_sub_f16_e32 v71, v60, v71
	v_sub_f16_e32 v73, v61, v73
	;; [unrolled: 1-line block ×3, first 2 shown]
	v_fma_f16 v151, v60, 2.0, -v71
	v_sub_f16_e32 v60, v58, v118
	v_sub_f16_e32 v64, v68, v64
	v_fma_f16 v148, v61, 2.0, -v73
	v_fma_f16 v149, v63, 2.0, -v75
	v_sub_f16_e32 v61, v153, v66
	v_sub_f16_e32 v63, v152, v154
	;; [unrolled: 1-line block ×3, first 2 shown]
	v_fma_f16 v138, v138, 2.0, -v139
	v_sub_f16_e32 v139, v78, v139
	v_add_f16_e32 v80, v135, v80
	v_fma_f16 v58, v58, 2.0, -v60
	v_fma_f16 v66, v152, 2.0, -v63
	v_add_f16_e32 v165, v61, v63
	v_fma_f16 v166, v60, 2.0, -v154
	v_sub_f16_e32 v60, v59, v157
	v_sub_f16_e32 v63, v155, v158
	v_fma_f16 v137, v137, 2.0, -v135
	v_fma_f16 v78, v78, 2.0, -v139
	;; [unrolled: 1-line block ×5, first 2 shown]
	v_sub_f16_e32 v64, v69, v65
	v_fma_f16 v65, v155, 2.0, -v63
	v_sub_f16_e32 v138, v137, v138
	v_fma_f16 v141, v141, 2.0, -v79
	v_add_f16_e32 v150, v62, v70
	v_sub_f16_e32 v155, v59, v65
	v_pack_b32_f16 v65, v78, v135
	v_sub_f16_e32 v142, v141, v142
	v_fma_f16 v164, v62, 2.0, -v150
	v_fma_f16 v62, v153, 2.0, -v61
	ds_write_b32 v82, v65 offset:1352
	v_pack_b32_f16 v65, v76, v138
	v_fma_f16 v137, v137, 2.0, -v138
	v_fma_f16 v141, v141, 2.0, -v142
	v_add_f16_e32 v81, v79, v81
	v_sub_f16_e32 v152, v62, v68
	v_fma_f16 v167, v61, 2.0, -v165
	v_sub_f16_e32 v61, v156, v67
	ds_write_b32 v82, v65 offset:2704
	v_pack_b32_f16 v65, v139, v80
	v_fma_f16 v79, v79, 2.0, -v81
	v_sub_f16_e32 v118, v58, v66
	v_fma_f16 v153, v62, 2.0, -v152
	v_fma_f16 v62, v156, 2.0, -v61
	;; [unrolled: 1-line block ×3, first 2 shown]
	v_sub_f16_e32 v158, v60, v64
	v_pack_b32_f16 v64, v140, v137
	ds_write_b32 v82, v65 offset:4056
	v_pack_b32_f16 v65, v144, v141
	v_sub_f16_e32 v146, v72, v146
	v_sub_f16_e32 v156, v62, v66
	ds_write2_b32 v82, v64, v65 offset1:52
	v_pack_b32_f16 v64, v161, v79
	v_pack_b32_f16 v65, v77, v142
	;; [unrolled: 1-line block ×3, first 2 shown]
	v_add_u32_e32 v66, 0x400, v82
	v_fma_f16 v72, v72, 2.0, -v146
	ds_write_b32 v82, v65 offset:2912
	v_pack_b32_f16 v65, v143, v81
	ds_write2_b32 v66, v64, v76 offset0:134 offset1:186
	v_pack_b32_f16 v76, v160, v145
	v_add_u32_e32 v64, 0x1000, v82
	v_pack_b32_f16 v72, v147, v72
	ds_write2_b32 v64, v65, v76 offset0:42 offset1:94
	v_pack_b32_f16 v65, v148, v149
	v_fma_f16 v58, v58, 2.0, -v118
	v_fma_f16 v67, v59, 2.0, -v155
	;; [unrolled: 1-line block ×3, first 2 shown]
	v_add_f16_e32 v168, v61, v63
	v_pack_b32_f16 v74, v74, v146
	ds_write2_b32 v82, v72, v65 offset0:104 offset1:156
	v_pack_b32_f16 v73, v73, v75
	v_add_u32_e32 v65, 0xc00, v82
	v_pack_b32_f16 v71, v71, v150
	v_fma_f16 v169, v60, 2.0, -v158
	v_fma_f16 v170, v61, 2.0, -v168
	v_pack_b32_f16 v72, v151, v164
	ds_write2_b32 v65, v74, v73 offset0:12 offset1:64
	ds_write_b32 v82, v71 offset:4680
	v_pack_b32_f16 v71, v58, v153
	v_pack_b32_f16 v73, v166, v167
	v_add_u32_e32 v58, 0x600, v82
	v_pack_b32_f16 v74, v67, v157
	v_add_u32_e32 v67, 0x200, v82
	v_sub_f16_e32 v59, v129, v132
	v_sub_f16_e32 v68, v130, v134
	;; [unrolled: 1-line block ×4, first 2 shown]
	ds_write2_b32 v58, v72, v73 offset0:110 offset1:162
	ds_write2_b32 v67, v71, v74 offset0:80 offset1:132
	v_pack_b32_f16 v71, v169, v170
	v_fma_f16 v69, v129, 2.0, -v59
	v_fma_f16 v70, v130, 2.0, -v68
	v_fma_f16 v61, v159, 2.0, -v62
	v_fma_f16 v63, v131, 2.0, -v60
	v_pack_b32_f16 v72, v118, v152
	ds_write_b32 v82, v71 offset:2392
	v_pack_b32_f16 v71, v155, v156
	v_sub_f16_e32 v61, v69, v61
	v_sub_f16_e32 v63, v70, v63
	;; [unrolled: 1-line block ×3, first 2 shown]
	v_add_f16_e32 v62, v68, v62
	v_pack_b32_f16 v73, v154, v165
	ds_write2_b32 v65, v72, v71 offset0:116 offset1:168
	v_pack_b32_f16 v71, v158, v168
	ds_write2_b32 v64, v73, v71 offset0:198 offset1:250
	s_and_saveexec_b64 s[4:5], s[0:1]
	s_cbranch_execz .LBB0_5
; %bb.4:
	v_fma_f16 v59, v59, 2.0, -v60
	v_fma_f16 v68, v68, 2.0, -v62
	v_pack_b32_f16 v59, v59, v68
	s_mov_b32 s7, 0x5040100
	v_fma_f16 v69, v69, 2.0, -v61
	v_fma_f16 v70, v70, 2.0, -v63
	ds_write_b32 v82, v59 offset:2600
	v_perm_b32 v59, v63, v61, s7
	v_pack_b32_f16 v69, v69, v70
	ds_write_b32 v82, v59 offset:3952
	v_perm_b32 v59, v62, v60, s7
	ds_write_b32 v82, v69 offset:1248
	ds_write_b32 v82, v59 offset:5304
.LBB0_5:
	s_or_b64 exec, exec, s[4:5]
	v_lshlrev_b32_e32 v59, 2, v108
	v_mov_b32_e32 v68, s13
	v_add_co_u32_e32 v59, vcc, s12, v59
	v_addc_co_u32_e32 v76, vcc, 0, v68, vcc
	v_add_co_u32_e32 v71, vcc, 0x1520, v59
	v_addc_co_u32_e32 v72, vcc, 0, v76, vcc
	s_waitcnt lgkmcnt(0)
	; wave barrier
	s_waitcnt lgkmcnt(0)
	global_load_dword v77, v[71:72], off offset:208
	v_add_co_u32_e32 v68, vcc, s6, v59
	v_addc_co_u32_e32 v69, vcc, 0, v76, vcc
	global_load_dword v78, v[68:69], off offset:1312
	global_load_dword v81, v[71:72], off offset:2704
	;; [unrolled: 1-line block ×8, first 2 shown]
	s_movk_i32 s4, 0x2000
	ds_read2_b32 v[73:74], v82 offset1:52
	v_add_co_u32_e32 v75, vcc, s4, v59
	global_load_dword v59, v[71:72], off offset:3536
	global_load_dword v135, v[71:72], off offset:3744
	global_load_dword v136, v[71:72], off offset:1040
	global_load_dword v137, v[71:72], off offset:1248
	global_load_dword v138, v[71:72], off offset:1456
	global_load_dword v139, v[71:72], off offset:1664
	global_load_dword v140, v[71:72], off offset:1872
	global_load_dword v141, v[71:72], off offset:2080
	global_load_dword v142, v[71:72], off offset:2288
	global_load_dword v143, v[71:72], off offset:2496
	v_addc_co_u32_e32 v76, vcc, 0, v76, vcc
	global_load_dword v144, v[75:76], off offset:1376
	global_load_dword v145, v[75:76], off offset:1584
	;; [unrolled: 1-line block ×4, first 2 shown]
	s_nop 0
	global_load_dword v71, v[71:72], off offset:3952
	s_waitcnt lgkmcnt(0)
	v_lshrrev_b32_e32 v79, 16, v73
	v_lshrrev_b32_e32 v80, 16, v74
	v_add_u32_e32 v68, 0x800, v82
	v_add_u32_e32 v70, 0xa00, v82
	s_mov_b32 s14, 0xb770
	s_movk_i32 s15, 0x3b15
	s_movk_i32 s16, 0x3770
	s_mov_b32 s7, 0xba95
	s_movk_i32 s12, 0x388b
	s_movk_i32 s13, 0x3a95
	;; [unrolled: 3-line block ×3, first 2 shown]
	s_mov_b32 s17, 0xbb7b
	s_mov_b32 s18, 0xb5ac
	s_movk_i32 s19, 0x3b7b
	s_mov_b32 s20, 0xb94e
	s_mov_b32 s21, 0xb9fd
	s_movk_i32 s22, 0x394e
	;; [unrolled: 3-line block ×3, first 2 shown]
	s_waitcnt vmcnt(22)
	v_mul_f16_sdwa v130, v79, v78 dst_sel:DWORD dst_unused:UNUSED_PAD src0_sel:DWORD src1_sel:WORD_1
	v_mul_f16_sdwa v72, v80, v77 dst_sel:DWORD dst_unused:UNUSED_PAD src0_sel:DWORD src1_sel:WORD_1
	;; [unrolled: 1-line block ×4, first 2 shown]
	v_fma_f16 v74, v74, v77, -v72
	v_fma_f16 v72, v73, v78, -v130
	v_fma_f16 v73, v79, v78, v148
	v_pack_b32_f16 v72, v72, v73
	ds_write_b32 v82, v72
	ds_read2_b32 v[72:73], v68 offset0:112 offset1:164
	v_fma_f16 v77, v80, v77, v129
	v_pack_b32_f16 v74, v74, v77
	ds_read2_b32 v[77:78], v70 offset0:88 offset1:140
	ds_read2_b32 v[79:80], v82 offset0:104 offset1:156
	;; [unrolled: 1-line block ×3, first 2 shown]
	s_waitcnt lgkmcnt(3)
	v_lshrrev_b32_e32 v148, 16, v73
	s_waitcnt vmcnt(21)
	v_mul_f16_sdwa v149, v73, v81 dst_sel:DWORD dst_unused:UNUSED_PAD src0_sel:DWORD src1_sel:WORD_1
	s_waitcnt lgkmcnt(2)
	v_lshrrev_b32_e32 v150, 16, v77
	s_waitcnt vmcnt(20)
	v_mul_f16_sdwa v151, v77, v118 dst_sel:DWORD dst_unused:UNUSED_PAD src0_sel:DWORD src1_sel:WORD_1
	s_waitcnt lgkmcnt(1)
	v_lshrrev_b32_e32 v152, 16, v79
	v_mul_f16_sdwa v158, v148, v81 dst_sel:DWORD dst_unused:UNUSED_PAD src0_sel:DWORD src1_sel:WORD_1
	v_fma_f16 v148, v148, v81, v149
	v_mul_f16_sdwa v149, v150, v118 dst_sel:DWORD dst_unused:UNUSED_PAD src0_sel:DWORD src1_sel:WORD_1
	s_waitcnt vmcnt(19)
	v_mul_f16_sdwa v153, v79, v131 dst_sel:DWORD dst_unused:UNUSED_PAD src0_sel:DWORD src1_sel:WORD_1
	v_fma_f16 v150, v150, v118, v151
	v_mul_f16_sdwa v151, v152, v131 dst_sel:DWORD dst_unused:UNUSED_PAD src0_sel:DWORD src1_sel:WORD_1
	v_fma_f16 v73, v73, v81, -v158
	v_fma_f16 v77, v77, v118, -v149
	v_fma_f16 v152, v152, v131, v153
	v_fma_f16 v79, v79, v131, -v151
	v_pack_b32_f16 v73, v73, v148
	v_pack_b32_f16 v77, v77, v150
	;; [unrolled: 1-line block ×3, first 2 shown]
	ds_write2_b32 v68, v73, v77 offset0:164 offset1:216
	ds_write2_b32 v82, v74, v79 offset0:52 offset1:104
	s_waitcnt lgkmcnt(2)
	v_lshrrev_b32_e32 v77, 16, v129
	s_waitcnt vmcnt(16)
	v_mul_f16_sdwa v73, v77, v134 dst_sel:DWORD dst_unused:UNUSED_PAD src0_sel:DWORD src1_sel:WORD_1
	v_fma_f16 v79, v129, v134, -v73
	ds_read2_b32 v[73:74], v67 offset0:80 offset1:132
	v_lshrrev_b32_e32 v154, 16, v78
	v_mul_f16_sdwa v155, v78, v132 dst_sel:DWORD dst_unused:UNUSED_PAD src0_sel:DWORD src1_sel:WORD_1
	v_mul_f16_sdwa v153, v154, v132 dst_sel:DWORD dst_unused:UNUSED_PAD src0_sel:DWORD src1_sel:WORD_1
	;; [unrolled: 1-line block ×3, first 2 shown]
	v_fma_f16 v154, v154, v132, v155
	v_fma_f16 v78, v78, v132, -v153
	v_fma_f16 v77, v77, v134, v81
	v_pack_b32_f16 v78, v78, v154
	v_pack_b32_f16 v77, v79, v77
	ds_write2_b32 v65, v78, v77 offset0:12 offset1:64
	s_waitcnt lgkmcnt(1)
	v_lshrrev_b32_e32 v77, 16, v73
	v_lshrrev_b32_e32 v156, 16, v80
	s_waitcnt vmcnt(15)
	v_mul_f16_sdwa v78, v77, v69 dst_sel:DWORD dst_unused:UNUSED_PAD src0_sel:DWORD src1_sel:WORD_1
	v_mul_f16_sdwa v157, v80, v133 dst_sel:DWORD dst_unused:UNUSED_PAD src0_sel:DWORD src1_sel:WORD_1
	;; [unrolled: 1-line block ×3, first 2 shown]
	v_fma_f16 v78, v73, v69, -v78
	v_mul_f16_sdwa v73, v73, v69 dst_sel:DWORD dst_unused:UNUSED_PAD src0_sel:DWORD src1_sel:WORD_1
	v_fma_f16 v156, v156, v133, v157
	v_fma_f16 v80, v80, v133, -v155
	v_fma_f16 v69, v77, v69, v73
	v_pack_b32_f16 v80, v80, v156
	v_pack_b32_f16 v69, v78, v69
	ds_write2_b32 v82, v80, v69 offset0:156 offset1:208
	v_lshrrev_b32_e32 v69, 16, v130
	s_waitcnt vmcnt(14)
	v_mul_f16_sdwa v73, v69, v59 dst_sel:DWORD dst_unused:UNUSED_PAD src0_sel:DWORD src1_sel:WORD_1
	v_mul_f16_sdwa v77, v130, v59 dst_sel:DWORD dst_unused:UNUSED_PAD src0_sel:DWORD src1_sel:WORD_1
	v_fma_f16 v73, v130, v59, -v73
	v_fma_f16 v59, v69, v59, v77
	ds_read2_b32 v[77:78], v65 offset0:168 offset1:220
	v_lshrrev_b32_e32 v69, 16, v74
	v_pack_b32_f16 v59, v73, v59
	s_waitcnt vmcnt(12)
	v_mul_f16_sdwa v73, v69, v136 dst_sel:DWORD dst_unused:UNUSED_PAD src0_sel:DWORD src1_sel:WORD_1
	v_fma_f16 v73, v74, v136, -v73
	v_mul_f16_sdwa v74, v74, v136 dst_sel:DWORD dst_unused:UNUSED_PAD src0_sel:DWORD src1_sel:WORD_1
	v_fma_f16 v69, v69, v136, v74
	s_waitcnt lgkmcnt(0)
	v_lshrrev_b32_e32 v79, 16, v77
	v_pack_b32_f16 v69, v73, v69
	v_mul_f16_sdwa v73, v79, v135 dst_sel:DWORD dst_unused:UNUSED_PAD src0_sel:DWORD src1_sel:WORD_1
	v_fma_f16 v80, v77, v135, -v73
	v_mul_f16_sdwa v77, v77, v135 dst_sel:DWORD dst_unused:UNUSED_PAD src0_sel:DWORD src1_sel:WORD_1
	ds_read2_b32 v[73:74], v66 offset0:56 offset1:108
	v_fma_f16 v77, v79, v135, v77
	v_pack_b32_f16 v77, v80, v77
	ds_write2_b32 v65, v59, v77 offset0:116 offset1:168
	global_load_dword v77, v[75:76], off offset:2208
	s_waitcnt lgkmcnt(1)
	v_lshrrev_b32_e32 v59, 16, v73
	s_waitcnt vmcnt(12)
	v_mul_f16_sdwa v79, v59, v137 dst_sel:DWORD dst_unused:UNUSED_PAD src0_sel:DWORD src1_sel:WORD_1
	v_fma_f16 v79, v73, v137, -v79
	v_mul_f16_sdwa v73, v73, v137 dst_sel:DWORD dst_unused:UNUSED_PAD src0_sel:DWORD src1_sel:WORD_1
	v_fma_f16 v59, v59, v137, v73
	v_pack_b32_f16 v59, v79, v59
	ds_write2_b32 v66, v69, v59 offset0:4 offset1:56
	v_lshrrev_b32_e32 v59, 16, v78
	s_waitcnt vmcnt(1)
	v_mul_f16_sdwa v69, v59, v71 dst_sel:DWORD dst_unused:UNUSED_PAD src0_sel:DWORD src1_sel:WORD_1
	v_fma_f16 v69, v78, v71, -v69
	v_mul_f16_sdwa v73, v78, v71 dst_sel:DWORD dst_unused:UNUSED_PAD src0_sel:DWORD src1_sel:WORD_1
	global_load_dword v78, v[75:76], off offset:2416
	ds_read2_b32 v[75:76], v64 offset0:16 offset1:68
	v_fma_f16 v59, v59, v71, v73
	v_pack_b32_f16 v59, v69, v59
	v_lshrrev_b32_e32 v69, 16, v74
	v_mul_f16_sdwa v71, v69, v138 dst_sel:DWORD dst_unused:UNUSED_PAD src0_sel:DWORD src1_sel:WORD_1
	v_mul_f16_sdwa v73, v74, v138 dst_sel:DWORD dst_unused:UNUSED_PAD src0_sel:DWORD src1_sel:WORD_1
	v_fma_f16 v71, v74, v138, -v71
	v_fma_f16 v69, v69, v138, v73
	v_pack_b32_f16 v71, v71, v69
	s_waitcnt lgkmcnt(0)
	v_lshrrev_b32_e32 v69, 16, v75
	v_mul_f16_sdwa v73, v69, v144 dst_sel:DWORD dst_unused:UNUSED_PAD src0_sel:DWORD src1_sel:WORD_1
	v_fma_f16 v79, v75, v144, -v73
	ds_read2_b32 v[73:74], v66 offset0:160 offset1:212
	v_mul_f16_sdwa v75, v75, v144 dst_sel:DWORD dst_unused:UNUSED_PAD src0_sel:DWORD src1_sel:WORD_1
	v_fma_f16 v69, v69, v144, v75
	v_pack_b32_f16 v75, v79, v69
	v_add_u32_e32 v69, 0xe00, v82
	ds_write2_b32 v69, v59, v75 offset0:92 offset1:144
	s_waitcnt lgkmcnt(1)
	v_lshrrev_b32_e32 v59, 16, v73
	v_mul_f16_sdwa v75, v59, v139 dst_sel:DWORD dst_unused:UNUSED_PAD src0_sel:DWORD src1_sel:WORD_1
	v_fma_f16 v75, v73, v139, -v75
	v_mul_f16_sdwa v73, v73, v139 dst_sel:DWORD dst_unused:UNUSED_PAD src0_sel:DWORD src1_sel:WORD_1
	v_fma_f16 v59, v59, v139, v73
	v_pack_b32_f16 v59, v75, v59
	ds_write2_b32 v66, v71, v59 offset0:108 offset1:160
	v_lshrrev_b32_e32 v59, 16, v76
	v_mul_f16_sdwa v71, v59, v145 dst_sel:DWORD dst_unused:UNUSED_PAD src0_sel:DWORD src1_sel:WORD_1
	v_fma_f16 v71, v76, v145, -v71
	v_mul_f16_sdwa v73, v76, v145 dst_sel:DWORD dst_unused:UNUSED_PAD src0_sel:DWORD src1_sel:WORD_1
	ds_read2_b32 v[75:76], v64 offset0:120 offset1:172
	v_fma_f16 v59, v59, v145, v73
	v_pack_b32_f16 v59, v71, v59
	v_lshrrev_b32_e32 v71, 16, v74
	v_mul_f16_sdwa v73, v71, v140 dst_sel:DWORD dst_unused:UNUSED_PAD src0_sel:DWORD src1_sel:WORD_1
	v_fma_f16 v73, v74, v140, -v73
	v_mul_f16_sdwa v74, v74, v140 dst_sel:DWORD dst_unused:UNUSED_PAD src0_sel:DWORD src1_sel:WORD_1
	v_fma_f16 v71, v71, v140, v74
	s_waitcnt lgkmcnt(0)
	v_lshrrev_b32_e32 v79, 16, v75
	v_pack_b32_f16 v71, v73, v71
	v_mul_f16_sdwa v73, v79, v146 dst_sel:DWORD dst_unused:UNUSED_PAD src0_sel:DWORD src1_sel:WORD_1
	v_fma_f16 v80, v75, v146, -v73
	ds_read2_b32 v[73:74], v68 offset0:8 offset1:60
	v_mul_f16_sdwa v75, v75, v146 dst_sel:DWORD dst_unused:UNUSED_PAD src0_sel:DWORD src1_sel:WORD_1
	v_fma_f16 v75, v79, v146, v75
	v_pack_b32_f16 v75, v80, v75
	ds_write2_b32 v64, v59, v75 offset0:68 offset1:120
	s_waitcnt lgkmcnt(1)
	v_lshrrev_b32_e32 v59, 16, v73
	v_mul_f16_sdwa v75, v59, v141 dst_sel:DWORD dst_unused:UNUSED_PAD src0_sel:DWORD src1_sel:WORD_1
	v_fma_f16 v75, v73, v141, -v75
	v_mul_f16_sdwa v73, v73, v141 dst_sel:DWORD dst_unused:UNUSED_PAD src0_sel:DWORD src1_sel:WORD_1
	v_fma_f16 v59, v59, v141, v73
	v_pack_b32_f16 v59, v75, v59
	ds_write2_b32 v58, v71, v59 offset0:84 offset1:136
	v_lshrrev_b32_e32 v58, 16, v76
	v_mul_f16_sdwa v59, v58, v147 dst_sel:DWORD dst_unused:UNUSED_PAD src0_sel:DWORD src1_sel:WORD_1
	v_mul_f16_sdwa v71, v76, v147 dst_sel:DWORD dst_unused:UNUSED_PAD src0_sel:DWORD src1_sel:WORD_1
	v_fma_f16 v59, v76, v147, -v59
	v_fma_f16 v58, v58, v147, v71
	v_add_u32_e32 v71, 0x1200, v82
	v_pack_b32_f16 v73, v59, v58
	ds_read2_b32 v[58:59], v71 offset0:96 offset1:148
	v_lshrrev_b32_e32 v75, 16, v74
	v_mul_f16_sdwa v76, v75, v142 dst_sel:DWORD dst_unused:UNUSED_PAD src0_sel:DWORD src1_sel:WORD_1
	v_fma_f16 v76, v74, v142, -v76
	v_mul_f16_sdwa v74, v74, v142 dst_sel:DWORD dst_unused:UNUSED_PAD src0_sel:DWORD src1_sel:WORD_1
	v_fma_f16 v74, v75, v142, v74
	s_waitcnt lgkmcnt(0)
	v_lshrrev_b32_e32 v75, 16, v58
	v_pack_b32_f16 v74, v76, v74
	s_waitcnt vmcnt(1)
	v_mul_f16_sdwa v76, v75, v77 dst_sel:DWORD dst_unused:UNUSED_PAD src0_sel:DWORD src1_sel:WORD_1
	v_fma_f16 v76, v58, v77, -v76
	v_mul_f16_sdwa v58, v58, v77 dst_sel:DWORD dst_unused:UNUSED_PAD src0_sel:DWORD src1_sel:WORD_1
	v_fma_f16 v58, v75, v77, v58
	v_pack_b32_f16 v58, v76, v58
	ds_write2_b32 v64, v73, v58 offset0:172 offset1:224
	v_lshrrev_b32_e32 v58, 16, v72
	v_mul_f16_sdwa v73, v58, v143 dst_sel:DWORD dst_unused:UNUSED_PAD src0_sel:DWORD src1_sel:WORD_1
	v_fma_f16 v73, v72, v143, -v73
	v_mul_f16_sdwa v72, v72, v143 dst_sel:DWORD dst_unused:UNUSED_PAD src0_sel:DWORD src1_sel:WORD_1
	v_fma_f16 v58, v58, v143, v72
	v_pack_b32_f16 v58, v73, v58
	ds_write2_b32 v68, v74, v58 offset0:60 offset1:112
	v_lshrrev_b32_e32 v58, 16, v59
	s_waitcnt vmcnt(0)
	v_mul_f16_sdwa v72, v58, v78 dst_sel:DWORD dst_unused:UNUSED_PAD src0_sel:DWORD src1_sel:WORD_1
	v_fma_f16 v72, v59, v78, -v72
	v_mul_f16_sdwa v59, v59, v78 dst_sel:DWORD dst_unused:UNUSED_PAD src0_sel:DWORD src1_sel:WORD_1
	v_fma_f16 v58, v58, v78, v59
	v_pack_b32_f16 v58, v72, v58
	ds_write_b32 v82, v58 offset:5200
	s_waitcnt lgkmcnt(0)
	; wave barrier
	s_waitcnt lgkmcnt(0)
	ds_read2_b32 v[58:59], v82 offset1:52
	ds_read2_b32 v[72:73], v70 offset0:88 offset1:140
	ds_read2_b32 v[74:75], v82 offset0:104 offset1:156
	;; [unrolled: 1-line block ×7, first 2 shown]
	s_waitcnt lgkmcnt(4)
	v_pk_add_f16 v130, v75, v78 neg_lo:[0,1] neg_hi:[0,1]
	v_pk_fma_f16 v129, v75, 2.0, v130 op_sel_hi:[1,0,1] neg_lo:[0,0,1] neg_hi:[0,0,1]
	s_waitcnt lgkmcnt(3)
	v_pk_add_f16 v75, v80, v79 neg_lo:[0,1] neg_hi:[0,1]
	ds_read2_b32 v[78:79], v66 offset0:56 offset1:108
	s_waitcnt lgkmcnt(3)
	v_pk_add_f16 v134, v81, v131 neg_lo:[0,1] neg_hi:[0,1]
	v_pk_fma_f16 v133, v81, 2.0, v134 op_sel_hi:[1,0,1] neg_lo:[0,0,1] neg_hi:[0,0,1]
	v_pk_add_f16 v73, v74, v73 neg_lo:[0,1] neg_hi:[0,1]
	v_pk_add_f16 v77, v59, v72 neg_lo:[0,1] neg_hi:[0,1]
	s_waitcnt lgkmcnt(0)
	v_pk_add_f16 v81, v78, v132 neg_lo:[0,1] neg_hi:[0,1]
	ds_read2_b32 v[131:132], v66 offset0:160 offset1:212
	v_pk_add_f16 v138, v79, v135 neg_lo:[0,1] neg_hi:[0,1]
	v_pk_fma_f16 v137, v79, 2.0, v138 op_sel_hi:[1,0,1] neg_lo:[0,0,1] neg_hi:[0,0,1]
	v_pk_fma_f16 v72, v74, 2.0, v73 op_sel_hi:[1,0,1] neg_lo:[0,0,1] neg_hi:[0,0,1]
	v_pk_fma_f16 v74, v80, 2.0, v75 op_sel_hi:[1,0,1] neg_lo:[0,0,1] neg_hi:[0,0,1]
	s_waitcnt lgkmcnt(0)
	v_pk_add_f16 v79, v131, v136 neg_lo:[0,1] neg_hi:[0,1]
	v_pk_add_f16 v142, v132, v139 neg_lo:[0,1] neg_hi:[0,1]
	v_pk_fma_f16 v80, v78, 2.0, v81 op_sel_hi:[1,0,1] neg_lo:[0,0,1] neg_hi:[0,0,1]
	v_pk_fma_f16 v78, v131, 2.0, v79 op_sel_hi:[1,0,1] neg_lo:[0,0,1] neg_hi:[0,0,1]
	ds_read2_b32 v[135:136], v68 offset0:8 offset1:60
	ds_read2_b32 v[143:144], v71 offset0:96 offset1:148
	v_pk_fma_f16 v141, v132, 2.0, v142 op_sel_hi:[1,0,1] neg_lo:[0,0,1] neg_hi:[0,0,1]
	ds_read2_b32 v[131:132], v68 offset0:112 offset1:164
	v_pk_fma_f16 v76, v59, 2.0, v77 op_sel_hi:[1,0,1] neg_lo:[0,0,1] neg_hi:[0,0,1]
	s_waitcnt lgkmcnt(2)
	v_pk_add_f16 v140, v135, v140 neg_lo:[0,1] neg_hi:[0,1]
	s_waitcnt lgkmcnt(1)
	v_pk_add_f16 v146, v136, v143 neg_lo:[0,1] neg_hi:[0,1]
	v_pk_fma_f16 v145, v136, 2.0, v146 op_sel_hi:[1,0,1] neg_lo:[0,0,1] neg_hi:[0,0,1]
	s_waitcnt lgkmcnt(0)
	v_pk_add_f16 v59, v58, v132 neg_lo:[0,1] neg_hi:[0,1]
	v_pk_add_f16 v136, v131, v144 neg_lo:[0,1] neg_hi:[0,1]
	v_pk_fma_f16 v58, v58, 2.0, v59 op_sel_hi:[1,0,1] neg_lo:[0,0,1] neg_hi:[0,0,1]
	v_pk_fma_f16 v139, v135, 2.0, v140 op_sel_hi:[1,0,1] neg_lo:[0,0,1] neg_hi:[0,0,1]
	;; [unrolled: 1-line block ×3, first 2 shown]
	s_waitcnt lgkmcnt(0)
	; wave barrier
	ds_write_b64 v111, v[58:59]
	ds_write_b64 v112, v[76:77]
	;; [unrolled: 1-line block ×13, first 2 shown]
	s_waitcnt lgkmcnt(0)
	; wave barrier
	s_waitcnt lgkmcnt(0)
	ds_read2_b32 v[72:73], v82 offset0:104 offset1:156
	ds_read2_b32 v[74:75], v67 offset0:80 offset1:132
	ds_read2_b32 v[58:59], v82 offset1:52
	ds_read2_b32 v[77:78], v66 offset0:56 offset1:108
	ds_read2_b32 v[111:112], v66 offset0:160 offset1:212
	;; [unrolled: 1-line block ×5, first 2 shown]
	s_waitcnt lgkmcnt(4)
	v_lshrrev_b32_e32 v80, 16, v77
	v_lshrrev_b32_e32 v76, 16, v72
	v_mul_f16_sdwa v153, v0, v76 dst_sel:DWORD dst_unused:UNUSED_PAD src0_sel:WORD_1 src1_sel:DWORD
	v_lshrrev_b32_e32 v79, 16, v74
	v_fma_f16 v153, v0, v72, v153
	v_mul_f16_sdwa v72, v0, v72 dst_sel:DWORD dst_unused:UNUSED_PAD src0_sel:WORD_1 src1_sel:DWORD
	v_fma_f16 v154, v0, v76, -v72
	v_mul_f16_sdwa v72, v1, v79 dst_sel:DWORD dst_unused:UNUSED_PAD src0_sel:WORD_1 src1_sel:DWORD
	v_fma_f16 v155, v1, v74, v72
	v_mul_f16_sdwa v72, v1, v74 dst_sel:DWORD dst_unused:UNUSED_PAD src0_sel:WORD_1 src1_sel:DWORD
	v_fma_f16 v156, v1, v79, -v72
	v_mul_f16_sdwa v72, v2, v80 dst_sel:DWORD dst_unused:UNUSED_PAD src0_sel:WORD_1 src1_sel:DWORD
	s_waitcnt lgkmcnt(3)
	v_lshrrev_b32_e32 v81, 16, v111
	v_fma_f16 v157, v2, v77, v72
	v_mul_f16_sdwa v72, v2, v77 dst_sel:DWORD dst_unused:UNUSED_PAD src0_sel:WORD_1 src1_sel:DWORD
	v_fma_f16 v158, v2, v80, -v72
	v_mul_f16_sdwa v72, v3, v81 dst_sel:DWORD dst_unused:UNUSED_PAD src0_sel:WORD_1 src1_sel:DWORD
	s_waitcnt lgkmcnt(2)
	v_lshrrev_b32_e32 v113, 16, v118
	;; [unrolled: 6-line block ×4, first 2 shown]
	v_fma_f16 v118, v9, v120, v72
	v_mul_f16_sdwa v72, v9, v120 dst_sel:DWORD dst_unused:UNUSED_PAD src0_sel:WORD_1 src1_sel:DWORD
	ds_read2_b32 v[124:125], v65 offset0:64 offset1:116
	ds_read2_b32 v[126:127], v65 offset0:168 offset1:220
	;; [unrolled: 1-line block ×5, first 2 shown]
	v_fma_f16 v120, v9, v134, -v72
	v_mul_f16_sdwa v72, v10, v135 dst_sel:DWORD dst_unused:UNUSED_PAD src0_sel:WORD_1 src1_sel:DWORD
	s_waitcnt lgkmcnt(4)
	v_lshrrev_b32_e32 v136, 16, v124
	v_fma_f16 v134, v10, v122, v72
	v_mul_f16_sdwa v72, v10, v122 dst_sel:DWORD dst_unused:UNUSED_PAD src0_sel:WORD_1 src1_sel:DWORD
	v_fma_f16 v122, v10, v135, -v72
	v_mul_f16_sdwa v72, v11, v136 dst_sel:DWORD dst_unused:UNUSED_PAD src0_sel:WORD_1 src1_sel:DWORD
	s_waitcnt lgkmcnt(3)
	v_lshrrev_b32_e32 v137, 16, v126
	v_fma_f16 v135, v11, v124, v72
	v_mul_f16_sdwa v72, v11, v124 dst_sel:DWORD dst_unused:UNUSED_PAD src0_sel:WORD_1 src1_sel:DWORD
	;; [unrolled: 6-line block ×5, first 2 shown]
	v_fma_f16 v130, v6, v139, -v72
	v_mul_f16_sdwa v72, v7, v140 dst_sel:DWORD dst_unused:UNUSED_PAD src0_sel:WORD_1 src1_sel:DWORD
	v_lshrrev_b32_e32 v141, 16, v73
	v_fma_f16 v139, v7, v132, v72
	v_mul_f16_sdwa v72, v7, v132 dst_sel:DWORD dst_unused:UNUSED_PAD src0_sel:WORD_1 src1_sel:DWORD
	v_fma_f16 v132, v7, v140, -v72
	v_mul_f16_sdwa v72, v0, v141 dst_sel:DWORD dst_unused:UNUSED_PAD src0_sel:WORD_1 src1_sel:DWORD
	v_lshrrev_b32_e32 v142, 16, v75
	v_fma_f16 v140, v0, v73, v72
	v_mul_f16_sdwa v72, v0, v73 dst_sel:DWORD dst_unused:UNUSED_PAD src0_sel:WORD_1 src1_sel:DWORD
	;; [unrolled: 5-line block ×12, first 2 shown]
	v_fma_f16 v6, v6, v151, -v0
	v_mul_f16_sdwa v0, v7, v152 dst_sel:DWORD dst_unused:UNUSED_PAD src0_sel:WORD_1 src1_sel:DWORD
	v_fma_f16 v112, v7, v133, v0
	v_mul_f16_sdwa v0, v7, v133 dst_sel:DWORD dst_unused:UNUSED_PAD src0_sel:WORD_1 src1_sel:DWORD
	v_fma_f16 v7, v7, v152, -v0
	v_add_f16_e32 v0, v58, v153
	v_add_f16_sdwa v1, v58, v154 dst_sel:DWORD dst_unused:UNUSED_PAD src0_sel:WORD_1 src1_sel:DWORD
	v_add_f16_e32 v0, v0, v155
	v_add_f16_e32 v1, v1, v156
	;; [unrolled: 1-line block ×19, first 2 shown]
	v_sub_f16_e32 v125, v154, v132
	v_add_f16_e32 v0, v0, v138
	v_add_f16_e32 v1, v1, v130
	;; [unrolled: 1-line block ×3, first 2 shown]
	v_sub_f16_e32 v123, v153, v139
	v_mul_f16_e32 v127, 0xb770, v125
	v_mul_f16_e32 v131, 0x3b15, v121
	;; [unrolled: 1-line block ×12, first 2 shown]
	v_add_f16_e32 v0, v0, v139
	v_add_f16_e32 v1, v1, v132
	v_fma_f16 v129, v119, s15, v127
	v_fma_f16 v132, v123, s16, v131
	v_fma_f16 v127, v119, s15, -v127
	v_fma_f16 v131, v123, s14, v131
	v_fma_f16 v139, v119, s12, v133
	v_fma_f16 v143, v123, s13, v142
	v_fma_f16 v133, v119, s12, -v133
	v_fma_f16 v142, v123, s7, v142
	;; [unrolled: 4-line block ×6, first 2 shown]
	v_add_f16_e32 v123, v156, v130
	v_sub_f16_e32 v130, v156, v130
	v_add_f16_e32 v129, v58, v129
	v_add_f16_sdwa v132, v58, v132 dst_sel:DWORD dst_unused:UNUSED_PAD src0_sel:WORD_1 src1_sel:DWORD
	v_add_f16_e32 v127, v58, v127
	v_add_f16_sdwa v131, v58, v131 dst_sel:DWORD dst_unused:UNUSED_PAD src0_sel:WORD_1 src1_sel:DWORD
	;; [unrolled: 2-line block ×12, first 2 shown]
	v_add_f16_e32 v121, v155, v138
	v_sub_f16_e32 v125, v155, v138
	v_mul_f16_e32 v138, 0xba95, v130
	v_fma_f16 v155, v121, s12, v138
	v_add_f16_e32 v129, v155, v129
	v_mul_f16_e32 v155, 0x388b, v123
	v_fma_f16 v138, v121, s12, -v138
	v_add_f16_e32 v127, v138, v127
	v_fma_f16 v138, v125, s7, v155
	v_add_f16_e32 v131, v138, v131
	v_mul_f16_e32 v138, 0xbb7b, v130
	v_fma_f16 v156, v125, s13, v155
	v_fma_f16 v155, v121, s18, v138
	v_add_f16_e32 v139, v155, v139
	v_mul_f16_e32 v155, 0xb5ac, v123
	v_fma_f16 v138, v121, s18, -v138
	v_add_f16_e32 v133, v138, v133
	v_fma_f16 v138, v125, s17, v155
	v_add_f16_e32 v138, v138, v142
	v_mul_f16_e32 v142, 0xb3a8, v130
	v_add_f16_e32 v132, v156, v132
	v_fma_f16 v156, v125, s19, v155
	v_fma_f16 v155, v121, s24, v142
	v_add_f16_e32 v145, v155, v145
	v_mul_f16_e32 v155, 0xbbc4, v123
	v_fma_f16 v142, v121, s24, -v142
	v_add_f16_e32 v142, v142, v144
	v_fma_f16 v144, v125, s23, v155
	v_add_f16_e32 v144, v144, v146
	v_mul_f16_e32 v146, 0x394e, v130
	v_add_f16_e32 v143, v156, v143
	;; [unrolled: 10-line block ×3, first 2 shown]
	v_fma_f16 v156, v125, s20, v155
	v_fma_f16 v155, v121, s5, v150
	v_add_f16_e32 v153, v155, v153
	v_mul_f16_e32 v155, 0x2fb7, v123
	v_fma_f16 v150, v121, s5, -v150
	v_add_f16_e32 v150, v150, v152
	v_fma_f16 v152, v125, s6, v155
	v_mul_f16_e32 v130, 0x3770, v130
	v_add_f16_e32 v152, v152, v154
	v_fma_f16 v154, v121, s15, v130
	v_mul_f16_e32 v123, 0x3b15, v123
	v_fma_f16 v121, v121, s15, -v130
	v_add_f16_e32 v151, v156, v151
	v_fma_f16 v156, v125, s4, v155
	v_fma_f16 v155, v125, s14, v123
	v_add_f16_e32 v119, v121, v119
	v_fma_f16 v121, v125, s16, v123
	v_add_f16_e32 v123, v158, v128
	v_sub_f16_e32 v128, v158, v128
	v_add_f16_e32 v58, v121, v58
	v_add_f16_e32 v121, v157, v137
	v_mul_f16_e32 v130, 0xbbf1, v128
	v_sub_f16_e32 v125, v157, v137
	v_fma_f16 v137, v121, s5, v130
	v_add_f16_e32 v129, v137, v129
	v_mul_f16_e32 v137, 0x2fb7, v123
	v_fma_f16 v130, v121, s5, -v130
	v_add_f16_e32 v127, v130, v127
	v_fma_f16 v130, v125, s4, v137
	v_add_f16_e32 v130, v130, v131
	v_mul_f16_e32 v131, 0xb3a8, v128
	v_fma_f16 v157, v125, s6, v137
	v_fma_f16 v137, v121, s24, v131
	v_add_f16_e32 v137, v137, v139
	v_mul_f16_e32 v139, 0xbbc4, v123
	v_fma_f16 v131, v121, s24, -v131
	v_add_f16_e32 v131, v131, v133
	v_fma_f16 v133, v125, s23, v139
	v_add_f16_e32 v133, v133, v138
	v_mul_f16_e32 v138, 0x3b7b, v128
	v_add_f16_e32 v132, v157, v132
	v_fma_f16 v157, v125, s25, v139
	v_fma_f16 v139, v121, s18, v138
	v_add_f16_e32 v139, v139, v145
	v_mul_f16_e32 v145, 0xb5ac, v123
	v_fma_f16 v138, v121, s18, -v138
	v_add_f16_e32 v138, v138, v142
	v_fma_f16 v142, v125, s19, v145
	v_add_f16_e32 v142, v142, v144
	v_mul_f16_e32 v144, 0x3770, v128
	v_add_f16_e32 v143, v157, v143
	;; [unrolled: 10-line block ×3, first 2 shown]
	v_fma_f16 v157, v125, s14, v149
	v_fma_f16 v149, v121, s12, v148
	v_add_f16_e32 v149, v149, v153
	v_mul_f16_e32 v153, 0x388b, v123
	v_fma_f16 v148, v121, s12, -v148
	v_add_f16_e32 v148, v148, v150
	v_fma_f16 v150, v125, s7, v153
	v_mul_f16_e32 v128, 0xb94e, v128
	v_add_f16_e32 v150, v150, v152
	v_fma_f16 v152, v121, s21, v128
	v_mul_f16_e32 v123, 0xb9fd, v123
	v_fma_f16 v121, v121, s21, -v128
	v_add_f16_e32 v151, v157, v151
	v_fma_f16 v157, v125, s13, v153
	v_fma_f16 v153, v125, s22, v123
	v_add_f16_e32 v119, v121, v119
	v_fma_f16 v121, v125, s20, v123
	v_add_f16_e32 v123, v160, v126
	v_sub_f16_e32 v126, v160, v126
	v_add_f16_e32 v58, v121, v58
	v_add_f16_e32 v121, v159, v136
	v_mul_f16_e32 v128, 0xbb7b, v126
	v_sub_f16_e32 v125, v159, v136
	v_fma_f16 v136, v121, s18, v128
	v_add_f16_e32 v129, v136, v129
	v_mul_f16_e32 v136, 0xb5ac, v123
	v_fma_f16 v128, v121, s18, -v128
	v_add_f16_e32 v127, v128, v127
	v_fma_f16 v128, v125, s17, v136
	v_add_f16_e32 v154, v154, v163
	v_add_f16_e32 v128, v128, v130
	v_mul_f16_e32 v130, 0x394e, v126
	v_add_f16_e32 v152, v152, v154
	v_fma_f16 v154, v125, s19, v136
	v_fma_f16 v136, v121, s21, v130
	v_add_f16_e32 v136, v136, v137
	v_mul_f16_e32 v137, 0xb9fd, v123
	v_fma_f16 v130, v121, s21, -v130
	v_add_f16_e32 v130, v130, v131
	v_fma_f16 v131, v125, s22, v137
	v_add_f16_e32 v131, v131, v133
	v_mul_f16_e32 v133, 0x3770, v126
	v_add_f16_e32 v132, v154, v132
	v_fma_f16 v154, v125, s20, v137
	v_fma_f16 v137, v121, s15, v133
	v_add_f16_e32 v137, v137, v139
	v_mul_f16_e32 v139, 0x3b15, v123
	v_fma_f16 v133, v121, s15, -v133
	v_add_f16_e32 v143, v154, v143
	v_fma_f16 v154, v125, s14, v139
	v_add_f16_e32 v133, v133, v138
	v_fma_f16 v138, v125, s16, v139
	v_mul_f16_e32 v139, 0xbbf1, v126
	v_add_f16_e32 v138, v138, v142
	v_fma_f16 v142, v121, s5, v139
	v_add_f16_e32 v142, v142, v145
	v_mul_f16_e32 v145, 0x2fb7, v123
	v_fma_f16 v139, v121, s5, -v139
	v_add_f16_e32 v147, v154, v147
	v_fma_f16 v154, v125, s6, v145
	v_add_f16_e32 v139, v139, v144
	v_fma_f16 v144, v125, s4, v145
	v_mul_f16_e32 v145, 0x33a8, v126
	v_add_f16_e32 v144, v144, v146
	v_fma_f16 v146, v121, s24, v145
	v_add_f16_e32 v146, v146, v149
	v_mul_f16_e32 v149, 0xbbc4, v123
	v_fma_f16 v145, v121, s24, -v145
	v_mul_f16_e32 v126, 0x3a95, v126
	v_add_f16_e32 v151, v154, v151
	v_fma_f16 v154, v125, s23, v149
	v_add_f16_e32 v145, v145, v148
	v_fma_f16 v148, v125, s25, v149
	v_fma_f16 v149, v121, s12, v126
	v_mul_f16_e32 v123, 0x388b, v123
	v_fma_f16 v121, v121, s12, -v126
	v_add_f16_e32 v148, v148, v150
	v_fma_f16 v150, v125, s7, v123
	v_add_f16_e32 v119, v121, v119
	v_fma_f16 v121, v125, s13, v123
	v_add_f16_e32 v123, v113, v124
	v_sub_f16_e32 v113, v113, v124
	v_add_f16_e32 v58, v121, v58
	v_add_f16_e32 v121, v161, v135
	v_mul_f16_e32 v124, 0xb94e, v113
	v_fma_f16 v126, v121, s21, v124
	v_sub_f16_e32 v125, v161, v135
	v_add_f16_e32 v126, v126, v129
	v_mul_f16_e32 v129, 0xb9fd, v123
	v_fma_f16 v124, v121, s21, -v124
	v_add_f16_e32 v124, v124, v127
	v_fma_f16 v127, v125, s20, v129
	v_fma_f16 v135, v125, s22, v129
	v_add_f16_e32 v127, v127, v128
	v_mul_f16_e32 v128, 0x3bf1, v113
	v_add_f16_e32 v132, v135, v132
	v_fma_f16 v129, v121, s5, v128
	v_mul_f16_e32 v135, 0x2fb7, v123
	v_fma_f16 v128, v121, s5, -v128
	v_add_f16_e32 v128, v128, v130
	v_fma_f16 v130, v125, s6, v135
	v_add_f16_e32 v130, v130, v131
	v_mul_f16_e32 v131, 0xba95, v113
	v_add_f16_e32 v129, v129, v136
	v_fma_f16 v136, v125, s4, v135
	v_fma_f16 v135, v121, s12, v131
	v_add_f16_e32 v135, v135, v137
	v_mul_f16_e32 v137, 0x388b, v123
	v_fma_f16 v131, v121, s12, -v131
	v_add_f16_e32 v136, v136, v143
	v_fma_f16 v143, v125, s13, v137
	v_add_f16_e32 v131, v131, v133
	v_fma_f16 v133, v125, s7, v137
	v_mul_f16_e32 v137, 0x33a8, v113
	v_add_f16_e32 v133, v133, v138
	v_fma_f16 v138, v121, s24, v137
	v_add_f16_e32 v138, v138, v142
	v_mul_f16_e32 v142, 0xbbc4, v123
	v_fma_f16 v137, v121, s24, -v137
	v_add_f16_e32 v143, v143, v147
	v_fma_f16 v147, v125, s23, v142
	v_add_f16_e32 v137, v137, v139
	v_fma_f16 v139, v125, s25, v142
	v_mul_f16_e32 v142, 0x3770, v113
	v_add_f16_e32 v139, v139, v144
	v_fma_f16 v144, v121, s15, v142
	v_add_f16_e32 v144, v144, v146
	v_mul_f16_e32 v146, 0x3b15, v123
	v_fma_f16 v142, v121, s15, -v142
	v_mul_f16_e32 v113, 0xbb7b, v113
	v_add_f16_e32 v147, v147, v151
	v_fma_f16 v151, v125, s14, v146
	v_add_f16_e32 v142, v142, v145
	v_fma_f16 v145, v125, s16, v146
	v_fma_f16 v146, v121, s18, v113
	v_mul_f16_e32 v123, 0xb5ac, v123
	v_fma_f16 v113, v121, s18, -v113
	v_add_f16_e32 v113, v113, v119
	v_fma_f16 v119, v125, s17, v123
	v_add_f16_e32 v121, v120, v122
	v_sub_f16_e32 v120, v120, v122
	v_add_f16_e32 v58, v119, v58
	v_add_f16_e32 v119, v118, v134
	v_mul_f16_e32 v122, 0xb3a8, v120
	v_add_f16_e32 v145, v145, v148
	v_fma_f16 v148, v125, s19, v123
	v_sub_f16_e32 v118, v118, v134
	v_fma_f16 v123, v119, s24, v122
	v_mul_f16_e32 v125, 0xbbc4, v121
	v_fma_f16 v122, v119, s24, -v122
	v_add_f16_e32 v123, v123, v126
	v_fma_f16 v126, v118, s25, v125
	v_add_f16_e32 v122, v122, v124
	v_fma_f16 v124, v118, s23, v125
	v_mul_f16_e32 v125, 0x3770, v120
	v_add_f16_e32 v124, v124, v127
	v_fma_f16 v127, v119, s15, v125
	v_add_f16_e32 v127, v127, v129
	v_mul_f16_e32 v129, 0x3b15, v121
	v_fma_f16 v125, v119, s15, -v125
	v_add_f16_e32 v126, v126, v132
	v_fma_f16 v132, v118, s14, v129
	v_add_f16_e32 v125, v125, v128
	v_fma_f16 v128, v118, s16, v129
	v_mul_f16_e32 v129, 0xb94e, v120
	v_add_f16_e32 v128, v128, v130
	v_fma_f16 v130, v119, s21, v129
	v_mul_f16_e32 v134, 0xb9fd, v121
	v_fma_f16 v129, v119, s21, -v129
	v_add_f16_e32 v129, v129, v131
	v_fma_f16 v131, v118, s20, v134
	v_add_f16_e32 v131, v131, v133
	v_mul_f16_e32 v133, 0x3a95, v120
	v_add_f16_e32 v132, v132, v136
	v_add_f16_e32 v130, v130, v135
	v_fma_f16 v135, v118, s22, v134
	v_fma_f16 v134, v119, s12, v133
	v_mul_f16_e32 v136, 0x388b, v121
	v_fma_f16 v133, v119, s12, -v133
	v_add_f16_e32 v134, v134, v138
	v_fma_f16 v138, v118, s7, v136
	v_add_f16_e32 v133, v133, v137
	v_fma_f16 v136, v118, s13, v136
	v_mul_f16_e32 v137, 0xbb7b, v120
	v_add_f16_e32 v135, v135, v143
	v_add_f16_e32 v136, v136, v139
	v_fma_f16 v139, v119, s18, v137
	v_mul_f16_e32 v143, 0xb5ac, v121
	v_fma_f16 v137, v119, s18, -v137
	v_mul_f16_e32 v120, 0x3bf1, v120
	v_add_f16_e32 v139, v139, v144
	v_fma_f16 v144, v118, s19, v143
	v_add_f16_e32 v137, v137, v142
	v_fma_f16 v142, v118, s17, v143
	v_fma_f16 v143, v119, s5, v120
	v_mul_f16_e32 v121, 0x2fb7, v121
	v_fma_f16 v119, v119, s5, -v120
	v_add_f16_e32 v142, v142, v145
	v_fma_f16 v145, v118, s4, v121
	v_add_f16_e32 v113, v119, v113
	v_fma_f16 v118, v118, s6, v121
	v_add_f16_sdwa v119, v59, v141 dst_sel:DWORD dst_unused:UNUSED_PAD src0_sel:WORD_1 src1_sel:DWORD
	v_add_f16_e32 v58, v118, v58
	v_add_f16_e32 v118, v59, v140
	;; [unrolled: 1-line block ×33, first 2 shown]
	v_sub_f16_e32 v7, v141, v7
	v_add_f16_e32 v151, v151, v154
	v_add_f16_e32 v143, v143, v146
	v_add_f16_e32 v145, v145, v148
	v_add_f16_e32 v118, v118, v112
	v_add_f16_e32 v120, v140, v112
	v_sub_f16_e32 v112, v140, v112
	v_mul_f16_e32 v140, 0xb770, v7
	v_mul_f16_e32 v146, 0x3b15, v121
	;; [unrolled: 1-line block ×12, first 2 shown]
	v_add_f16_e32 v138, v138, v147
	v_add_f16_e32 v144, v144, v151
	v_fma_f16 v141, v120, s15, v140
	v_fma_f16 v147, v112, s16, v146
	v_fma_f16 v140, v120, s15, -v140
	v_fma_f16 v146, v112, s14, v146
	v_fma_f16 v149, v120, s12, v148
	v_fma_f16 v151, v112, s13, v150
	v_fma_f16 v148, v120, s12, -v148
	v_fma_f16 v150, v112, s7, v150
	;; [unrolled: 4-line block ×6, first 2 shown]
	v_add_f16_e32 v120, v81, v6
	v_sub_f16_e32 v6, v81, v6
	v_add_f16_e32 v141, v59, v141
	v_add_f16_sdwa v147, v59, v147 dst_sel:DWORD dst_unused:UNUSED_PAD src0_sel:WORD_1 src1_sel:DWORD
	v_add_f16_e32 v140, v59, v140
	v_add_f16_sdwa v146, v59, v146 dst_sel:DWORD dst_unused:UNUSED_PAD src0_sel:WORD_1 src1_sel:DWORD
	v_add_f16_e32 v149, v59, v149
	v_add_f16_sdwa v151, v59, v151 dst_sel:DWORD dst_unused:UNUSED_PAD src0_sel:WORD_1 src1_sel:DWORD
	v_add_f16_e32 v148, v59, v148
	v_add_f16_sdwa v150, v59, v150 dst_sel:DWORD dst_unused:UNUSED_PAD src0_sel:WORD_1 src1_sel:DWORD
	v_add_f16_e32 v153, v59, v153
	v_add_f16_sdwa v155, v59, v155 dst_sel:DWORD dst_unused:UNUSED_PAD src0_sel:WORD_1 src1_sel:DWORD
	v_add_f16_e32 v152, v59, v152
	v_add_f16_sdwa v154, v59, v154 dst_sel:DWORD dst_unused:UNUSED_PAD src0_sel:WORD_1 src1_sel:DWORD
	v_add_f16_e32 v157, v59, v157
	v_add_f16_sdwa v159, v59, v159 dst_sel:DWORD dst_unused:UNUSED_PAD src0_sel:WORD_1 src1_sel:DWORD
	v_add_f16_e32 v156, v59, v156
	v_add_f16_sdwa v158, v59, v158 dst_sel:DWORD dst_unused:UNUSED_PAD src0_sel:WORD_1 src1_sel:DWORD
	v_add_f16_e32 v161, v59, v161
	v_add_f16_sdwa v163, v59, v163 dst_sel:DWORD dst_unused:UNUSED_PAD src0_sel:WORD_1 src1_sel:DWORD
	v_add_f16_e32 v160, v59, v160
	v_add_f16_sdwa v162, v59, v162 dst_sel:DWORD dst_unused:UNUSED_PAD src0_sel:WORD_1 src1_sel:DWORD
	v_add_f16_e32 v164, v59, v164
	v_add_f16_sdwa v165, v59, v165 dst_sel:DWORD dst_unused:UNUSED_PAD src0_sel:WORD_1 src1_sel:DWORD
	v_add_f16_e32 v7, v59, v7
	v_add_f16_sdwa v59, v59, v112 dst_sel:DWORD dst_unused:UNUSED_PAD src0_sel:WORD_1 src1_sel:DWORD
	v_add_f16_e32 v112, v80, v111
	v_mul_f16_e32 v81, 0xba95, v6
	v_sub_f16_e32 v80, v80, v111
	v_fma_f16 v111, v112, s12, v81
	v_mul_f16_e32 v121, 0x388b, v120
	v_fma_f16 v81, v112, s12, -v81
	v_add_f16_e32 v111, v111, v141
	v_fma_f16 v141, v80, s13, v121
	v_add_f16_e32 v81, v81, v140
	v_fma_f16 v121, v80, s7, v121
	v_mul_f16_e32 v140, 0xbb7b, v6
	v_add_f16_e32 v141, v141, v147
	v_add_f16_e32 v121, v121, v146
	v_fma_f16 v146, v112, s18, v140
	v_mul_f16_e32 v147, 0xb5ac, v120
	v_fma_f16 v140, v112, s18, -v140
	v_add_f16_e32 v146, v146, v149
	v_fma_f16 v149, v80, s19, v147
	v_add_f16_e32 v140, v140, v148
	v_fma_f16 v147, v80, s17, v147
	v_mul_f16_e32 v148, 0xb3a8, v6
	v_add_f16_e32 v149, v149, v151
	v_add_f16_e32 v147, v147, v150
	;; [unrolled: 10-line block ×4, first 2 shown]
	v_fma_f16 v158, v112, s5, v156
	v_mul_f16_e32 v159, 0x2fb7, v120
	v_fma_f16 v156, v112, s5, -v156
	v_mul_f16_e32 v6, 0x3770, v6
	v_add_f16_e32 v158, v158, v161
	v_fma_f16 v161, v80, s4, v159
	v_add_f16_e32 v156, v156, v160
	v_fma_f16 v159, v80, s6, v159
	v_fma_f16 v160, v112, s15, v6
	v_mul_f16_e32 v120, 0x3b15, v120
	v_fma_f16 v6, v112, s15, -v6
	v_add_f16_e32 v159, v159, v162
	v_fma_f16 v162, v80, s14, v120
	v_add_f16_e32 v6, v6, v7
	v_fma_f16 v7, v80, s16, v120
	v_add_f16_e32 v80, v78, v5
	v_sub_f16_e32 v5, v78, v5
	v_add_f16_e32 v7, v7, v59
	v_add_f16_e32 v59, v77, v79
	v_mul_f16_e32 v78, 0xbbf1, v5
	v_sub_f16_e32 v77, v77, v79
	v_fma_f16 v79, v59, s5, v78
	v_add_f16_e32 v79, v79, v111
	v_mul_f16_e32 v111, 0x2fb7, v80
	v_fma_f16 v78, v59, s5, -v78
	v_fma_f16 v112, v77, s6, v111
	v_add_f16_e32 v78, v78, v81
	v_fma_f16 v81, v77, s4, v111
	v_mul_f16_e32 v111, 0xb3a8, v5
	v_fma_f16 v120, v59, s24, v111
	v_fma_f16 v111, v59, s24, -v111
	v_add_f16_e32 v81, v81, v121
	v_mul_f16_e32 v121, 0xbbc4, v80
	v_add_f16_e32 v111, v111, v140
	v_mul_f16_e32 v140, 0x3b7b, v5
	v_add_f16_e32 v112, v112, v141
	v_add_f16_e32 v120, v120, v146
	v_fma_f16 v141, v77, s25, v121
	v_fma_f16 v121, v77, s23, v121
	v_fma_f16 v146, v59, s18, v140
	v_fma_f16 v140, v59, s18, -v140
	v_add_f16_e32 v121, v121, v147
	v_mul_f16_e32 v147, 0xb5ac, v80
	v_add_f16_e32 v140, v140, v148
	v_mul_f16_e32 v148, 0x3770, v5
	v_add_f16_e32 v141, v141, v149
	v_add_f16_e32 v146, v146, v150
	v_fma_f16 v149, v77, s17, v147
	v_fma_f16 v147, v77, s19, v147
	;; [unrolled: 10-line block ×3, first 2 shown]
	v_fma_f16 v154, v59, s12, v152
	v_fma_f16 v152, v59, s12, -v152
	v_mul_f16_e32 v5, 0xb94e, v5
	v_add_f16_e32 v151, v151, v155
	v_mul_f16_e32 v155, 0x388b, v80
	v_add_f16_e32 v152, v152, v156
	v_fma_f16 v156, v59, s21, v5
	v_mul_f16_e32 v80, 0xb9fd, v80
	v_fma_f16 v5, v59, s21, -v5
	v_add_f16_e32 v5, v5, v6
	v_fma_f16 v6, v77, s20, v80
	v_add_f16_e32 v59, v75, v4
	v_sub_f16_e32 v4, v75, v4
	v_add_f16_e32 v6, v6, v7
	v_add_f16_e32 v7, v74, v76
	v_mul_f16_e32 v75, 0xbb7b, v4
	v_sub_f16_e32 v74, v74, v76
	v_fma_f16 v76, v7, s18, v75
	v_fma_f16 v75, v7, s18, -v75
	v_add_f16_e32 v153, v153, v157
	v_add_f16_e32 v154, v154, v158
	v_fma_f16 v157, v77, s13, v155
	v_fma_f16 v155, v77, s7, v155
	;; [unrolled: 1-line block ×3, first 2 shown]
	v_mul_f16_e32 v77, 0xb5ac, v59
	v_add_f16_e32 v75, v75, v78
	v_mul_f16_e32 v78, 0x394e, v4
	v_add_f16_e32 v76, v76, v79
	v_fma_f16 v79, v74, s19, v77
	v_fma_f16 v77, v74, s17, v77
	v_fma_f16 v80, v7, s21, v78
	v_fma_f16 v78, v7, s21, -v78
	v_add_f16_e32 v77, v77, v81
	v_mul_f16_e32 v81, 0xb9fd, v59
	v_add_f16_e32 v78, v78, v111
	v_mul_f16_e32 v111, 0x3770, v4
	v_add_f16_e32 v79, v79, v112
	v_add_f16_e32 v80, v80, v120
	v_fma_f16 v112, v74, s20, v81
	v_fma_f16 v81, v74, s22, v81
	v_fma_f16 v120, v7, s15, v111
	v_fma_f16 v111, v7, s15, -v111
	v_add_f16_e32 v81, v81, v121
	v_mul_f16_e32 v121, 0x3b15, v59
	v_add_f16_e32 v111, v111, v140
	v_mul_f16_e32 v140, 0xbbf1, v4
	v_add_f16_e32 v112, v112, v141
	v_add_f16_e32 v120, v120, v146
	v_fma_f16 v141, v74, s14, v121
	v_fma_f16 v121, v74, s16, v121
	v_fma_f16 v146, v7, s5, v140
	v_fma_f16 v140, v7, s5, -v140
	v_add_f16_e32 v121, v121, v147
	v_mul_f16_e32 v147, 0x2fb7, v59
	v_add_f16_e32 v140, v140, v148
	v_mul_f16_e32 v148, 0x33a8, v4
	v_add_f16_e32 v141, v141, v149
	v_add_f16_e32 v146, v146, v150
	v_fma_f16 v149, v74, s6, v147
	v_fma_f16 v147, v74, s4, v147
	;; [unrolled: 1-line block ×3, first 2 shown]
	v_fma_f16 v148, v7, s24, -v148
	v_mul_f16_e32 v4, 0x3a95, v4
	v_add_f16_e32 v147, v147, v151
	v_mul_f16_e32 v151, 0xbbc4, v59
	v_add_f16_e32 v148, v148, v152
	v_fma_f16 v152, v7, s12, v4
	v_mul_f16_e32 v59, 0x388b, v59
	v_fma_f16 v4, v7, s12, -v4
	v_add_f16_e32 v4, v4, v5
	v_fma_f16 v5, v74, s13, v59
	v_add_f16_e32 v7, v73, v11
	v_sub_f16_e32 v11, v73, v11
	v_add_f16_e32 v150, v150, v154
	v_fma_f16 v154, v74, s7, v59
	v_add_f16_e32 v5, v5, v6
	v_add_f16_e32 v6, v72, v10
	v_mul_f16_e32 v59, 0xb94e, v11
	v_sub_f16_e32 v10, v72, v10
	v_fma_f16 v72, v6, s21, v59
	v_fma_f16 v59, v6, s21, -v59
	v_mul_f16_e32 v73, 0xb9fd, v7
	v_add_f16_e32 v59, v59, v75
	v_mul_f16_e32 v75, 0x3bf1, v11
	v_add_f16_e32 v149, v149, v153
	v_fma_f16 v153, v74, s23, v151
	v_fma_f16 v151, v74, s25, v151
	v_add_f16_e32 v72, v72, v76
	v_fma_f16 v74, v10, s22, v73
	v_fma_f16 v73, v10, s20, v73
	v_fma_f16 v76, v6, s5, v75
	v_fma_f16 v75, v6, s5, -v75
	v_add_f16_e32 v73, v73, v77
	v_mul_f16_e32 v77, 0x2fb7, v7
	v_add_f16_e32 v75, v75, v78
	v_mul_f16_e32 v78, 0xba95, v11
	v_add_f16_e32 v74, v74, v79
	v_add_f16_e32 v76, v76, v80
	v_fma_f16 v79, v10, s4, v77
	v_fma_f16 v77, v10, s6, v77
	v_fma_f16 v80, v6, s12, v78
	v_fma_f16 v78, v6, s12, -v78
	v_add_f16_e32 v77, v77, v81
	v_mul_f16_e32 v81, 0x388b, v7
	v_add_f16_e32 v78, v78, v111
	v_mul_f16_e32 v111, 0x33a8, v11
	v_add_f16_e32 v79, v79, v112
	;; [unrolled: 10-line block ×3, first 2 shown]
	v_add_f16_e32 v120, v120, v146
	v_fma_f16 v141, v10, s23, v121
	v_fma_f16 v121, v10, s25, v121
	;; [unrolled: 1-line block ×3, first 2 shown]
	v_fma_f16 v140, v6, s15, -v140
	v_mul_f16_e32 v11, 0xbb7b, v11
	v_add_f16_e32 v121, v121, v147
	v_mul_f16_e32 v147, 0x3b15, v7
	v_add_f16_e32 v140, v140, v148
	v_fma_f16 v148, v6, s18, v11
	v_mul_f16_e32 v7, 0xb5ac, v7
	v_fma_f16 v6, v6, s18, -v11
	v_add_f16_e32 v146, v146, v150
	v_fma_f16 v150, v10, s19, v7
	v_add_f16_e32 v4, v6, v4
	v_fma_f16 v6, v10, s17, v7
	v_add_f16_e32 v7, v3, v9
	v_sub_f16_e32 v3, v3, v9
	v_add_f16_e32 v141, v141, v149
	v_fma_f16 v149, v10, s14, v147
	v_fma_f16 v147, v10, s16, v147
	v_add_f16_e32 v5, v6, v5
	v_add_f16_e32 v6, v2, v8
	v_sub_f16_e32 v2, v2, v8
	v_mul_f16_e32 v8, 0xb3a8, v3
	v_mul_f16_e32 v10, 0xbbc4, v7
	v_fma_f16 v9, v6, s24, v8
	v_fma_f16 v11, v2, s25, v10
	v_fma_f16 v8, v6, s24, -v8
	v_fma_f16 v10, v2, s23, v10
	v_add_f16_e32 v8, v8, v59
	v_add_f16_e32 v10, v10, v73
	v_mul_f16_e32 v59, 0x3770, v3
	v_mul_f16_e32 v73, 0x3b15, v7
	v_pack_b32_f16 v0, v0, v1
	v_pack_b32_f16 v1, v123, v126
	v_add_f16_e32 v9, v9, v72
	v_add_f16_e32 v11, v11, v74
	v_fma_f16 v72, v6, s15, v59
	v_fma_f16 v74, v2, s14, v73
	v_fma_f16 v59, v6, s15, -v59
	v_fma_f16 v73, v2, s16, v73
	s_waitcnt lgkmcnt(0)
	; wave barrier
	ds_write2_b32 v114, v0, v1 offset1:2
	v_pack_b32_f16 v0, v127, v132
	v_pack_b32_f16 v1, v130, v135
	v_add_f16_e32 v59, v59, v75
	v_add_f16_e32 v73, v73, v77
	v_mul_f16_e32 v75, 0xb94e, v3
	v_mul_f16_e32 v77, 0xb9fd, v7
	ds_write2_b32 v114, v0, v1 offset0:4 offset1:6
	v_pack_b32_f16 v0, v134, v138
	v_pack_b32_f16 v1, v139, v144
	v_add_f16_e32 v72, v72, v76
	v_add_f16_e32 v74, v74, v79
	v_fma_f16 v76, v6, s21, v75
	v_fma_f16 v79, v2, s22, v77
	v_fma_f16 v75, v6, s21, -v75
	v_fma_f16 v77, v2, s20, v77
	ds_write2_b32 v114, v0, v1 offset0:8 offset1:10
	v_pack_b32_f16 v0, v143, v145
	v_pack_b32_f16 v1, v113, v58
	v_add_f16_e32 v161, v161, v163
	v_add_f16_e32 v75, v75, v78
	;; [unrolled: 1-line block ×3, first 2 shown]
	v_mul_f16_e32 v78, 0x3a95, v3
	v_mul_f16_e32 v81, 0x388b, v7
	ds_write2_b32 v114, v0, v1 offset0:12 offset1:14
	v_pack_b32_f16 v0, v137, v142
	v_pack_b32_f16 v1, v133, v136
	v_add_f16_e32 v160, v160, v164
	v_add_f16_e32 v162, v162, v165
	;; [unrolled: 1-line block ×5, first 2 shown]
	v_fma_f16 v80, v6, s12, v78
	v_fma_f16 v112, v2, s7, v81
	v_fma_f16 v78, v6, s12, -v78
	v_fma_f16 v81, v2, s13, v81
	ds_write2_b32 v114, v0, v1 offset0:16 offset1:18
	v_pack_b32_f16 v0, v129, v131
	v_pack_b32_f16 v1, v125, v128
	v_add_f16_e32 v156, v156, v160
	v_add_f16_e32 v158, v158, v162
	;; [unrolled: 1-line block ×5, first 2 shown]
	v_mul_f16_e32 v111, 0xbb7b, v3
	v_mul_f16_e32 v121, 0xb5ac, v7
	ds_write2_b32 v114, v0, v1 offset0:20 offset1:22
	v_pack_b32_f16 v0, v122, v124
	v_add_f16_e32 v155, v155, v159
	v_add_f16_e32 v152, v152, v156
	;; [unrolled: 1-line block ×6, first 2 shown]
	v_fma_f16 v120, v6, s18, v111
	v_fma_f16 v141, v2, s19, v121
	v_fma_f16 v111, v6, s18, -v111
	v_mul_f16_e32 v3, 0x3bf1, v3
	v_mul_f16_e32 v7, 0x2fb7, v7
	ds_write_b32 v114, v0 offset:96
	v_pack_b32_f16 v0, v118, v119
	v_pack_b32_f16 v1, v9, v11
	v_add_f16_e32 v151, v151, v155
	v_add_f16_e32 v148, v148, v152
	;; [unrolled: 1-line block ×6, first 2 shown]
	v_fma_f16 v121, v2, s17, v121
	v_fma_f16 v140, v6, s5, v3
	;; [unrolled: 1-line block ×3, first 2 shown]
	v_fma_f16 v3, v6, s5, -v3
	v_fma_f16 v2, v2, s6, v7
	ds_write2_b32 v115, v0, v1 offset1:2
	v_pack_b32_f16 v0, v72, v74
	v_pack_b32_f16 v1, v76, v79
	v_add_f16_e32 v147, v147, v151
	v_add_f16_e32 v140, v140, v148
	;; [unrolled: 1-line block ×5, first 2 shown]
	ds_write2_b32 v115, v0, v1 offset0:4 offset1:6
	v_pack_b32_f16 v0, v80, v112
	v_pack_b32_f16 v1, v120, v141
	v_add_f16_e32 v121, v121, v147
	ds_write2_b32 v115, v0, v1 offset0:8 offset1:10
	v_pack_b32_f16 v0, v140, v146
	v_pack_b32_f16 v1, v3, v2
	ds_write2_b32 v115, v0, v1 offset0:12 offset1:14
	v_pack_b32_f16 v0, v111, v121
	v_pack_b32_f16 v1, v78, v81
	;; [unrolled: 3-line block ×3, first 2 shown]
	ds_write2_b32 v115, v0, v1 offset0:20 offset1:22
	v_pack_b32_f16 v0, v8, v10
	ds_write_b32 v115, v0 offset:96
	s_waitcnt lgkmcnt(0)
	; wave barrier
	s_waitcnt lgkmcnt(0)
	ds_read2_b32 v[2:3], v82 offset0:104 offset1:156
	ds_read2_b32 v[4:5], v67 offset0:80 offset1:132
	ds_read2_b32 v[0:1], v82 offset1:52
	ds_read2_b32 v[6:7], v66 offset0:56 offset1:108
	ds_read2_b32 v[8:9], v66 offset0:160 offset1:212
	;; [unrolled: 1-line block ×5, first 2 shown]
	s_waitcnt lgkmcnt(4)
	v_lshrrev_b32_e32 v113, 16, v6
	v_lshrrev_b32_e32 v111, 16, v2
	v_mul_f16_sdwa v137, v12, v111 dst_sel:DWORD dst_unused:UNUSED_PAD src0_sel:WORD_1 src1_sel:DWORD
	v_lshrrev_b32_e32 v112, 16, v4
	v_fma_f16 v137, v12, v2, v137
	v_mul_f16_sdwa v2, v12, v2 dst_sel:DWORD dst_unused:UNUSED_PAD src0_sel:WORD_1 src1_sel:DWORD
	v_fma_f16 v111, v12, v111, -v2
	v_mul_f16_sdwa v2, v13, v112 dst_sel:DWORD dst_unused:UNUSED_PAD src0_sel:WORD_1 src1_sel:DWORD
	v_fma_f16 v138, v13, v4, v2
	v_mul_f16_sdwa v2, v13, v4 dst_sel:DWORD dst_unused:UNUSED_PAD src0_sel:WORD_1 src1_sel:DWORD
	v_fma_f16 v112, v13, v112, -v2
	v_mul_f16_sdwa v2, v14, v113 dst_sel:DWORD dst_unused:UNUSED_PAD src0_sel:WORD_1 src1_sel:DWORD
	s_waitcnt lgkmcnt(3)
	v_lshrrev_b32_e32 v114, 16, v8
	v_fma_f16 v139, v14, v6, v2
	v_mul_f16_sdwa v2, v14, v6 dst_sel:DWORD dst_unused:UNUSED_PAD src0_sel:WORD_1 src1_sel:DWORD
	v_fma_f16 v113, v14, v113, -v2
	v_mul_f16_sdwa v2, v15, v114 dst_sel:DWORD dst_unused:UNUSED_PAD src0_sel:WORD_1 src1_sel:DWORD
	s_waitcnt lgkmcnt(2)
	v_lshrrev_b32_e32 v115, 16, v10
	;; [unrolled: 6-line block ×4, first 2 shown]
	v_fma_f16 v115, v29, v58, v2
	v_mul_f16_sdwa v2, v29, v58 dst_sel:DWORD dst_unused:UNUSED_PAD src0_sel:WORD_1 src1_sel:DWORD
	ds_read2_b32 v[74:75], v65 offset0:64 offset1:116
	ds_read2_b32 v[76:77], v65 offset0:168 offset1:220
	;; [unrolled: 1-line block ×5, first 2 shown]
	v_fma_f16 v29, v29, v118, -v2
	v_mul_f16_sdwa v2, v30, v119 dst_sel:DWORD dst_unused:UNUSED_PAD src0_sel:WORD_1 src1_sel:DWORD
	s_waitcnt lgkmcnt(4)
	v_lshrrev_b32_e32 v120, 16, v74
	v_fma_f16 v58, v30, v72, v2
	v_mul_f16_sdwa v2, v30, v72 dst_sel:DWORD dst_unused:UNUSED_PAD src0_sel:WORD_1 src1_sel:DWORD
	v_fma_f16 v30, v30, v119, -v2
	v_mul_f16_sdwa v2, v31, v120 dst_sel:DWORD dst_unused:UNUSED_PAD src0_sel:WORD_1 src1_sel:DWORD
	s_waitcnt lgkmcnt(3)
	v_lshrrev_b32_e32 v121, 16, v76
	v_fma_f16 v72, v31, v74, v2
	v_mul_f16_sdwa v2, v31, v74 dst_sel:DWORD dst_unused:UNUSED_PAD src0_sel:WORD_1 src1_sel:DWORD
	;; [unrolled: 6-line block ×5, first 2 shown]
	v_fma_f16 v26, v26, v123, -v2
	v_mul_f16_sdwa v2, v27, v124 dst_sel:DWORD dst_unused:UNUSED_PAD src0_sel:WORD_1 src1_sel:DWORD
	v_lshrrev_b32_e32 v125, 16, v3
	v_fma_f16 v80, v27, v70, v2
	v_mul_f16_sdwa v2, v27, v70 dst_sel:DWORD dst_unused:UNUSED_PAD src0_sel:WORD_1 src1_sel:DWORD
	v_fma_f16 v27, v27, v124, -v2
	v_mul_f16_sdwa v2, v16, v125 dst_sel:DWORD dst_unused:UNUSED_PAD src0_sel:WORD_1 src1_sel:DWORD
	v_lshrrev_b32_e32 v126, 16, v5
	v_fma_f16 v70, v16, v3, v2
	v_mul_f16_sdwa v2, v16, v3 dst_sel:DWORD dst_unused:UNUSED_PAD src0_sel:WORD_1 src1_sel:DWORD
	;; [unrolled: 5-line block ×12, first 2 shown]
	v_fma_f16 v21, v22, v135, -v2
	v_mul_f16_sdwa v2, v23, v136 dst_sel:DWORD dst_unused:UNUSED_PAD src0_sel:WORD_1 src1_sel:DWORD
	v_add_f16_sdwa v3, v0, v111 dst_sel:DWORD dst_unused:UNUSED_PAD src0_sel:WORD_1 src1_sel:DWORD
	v_fma_f16 v22, v23, v71, v2
	v_mul_f16_sdwa v2, v23, v71 dst_sel:DWORD dst_unused:UNUSED_PAD src0_sel:WORD_1 src1_sel:DWORD
	v_add_f16_e32 v3, v3, v112
	v_fma_f16 v23, v23, v136, -v2
	v_add_f16_e32 v2, v0, v137
	v_add_f16_e32 v3, v3, v113
	;; [unrolled: 1-line block ×21, first 2 shown]
	v_sub_f16_e32 v27, v111, v27
	v_add_f16_e32 v2, v2, v119
	v_add_f16_e32 v32, v137, v80
	v_sub_f16_e32 v34, v137, v80
	v_mul_f16_e32 v35, 0xb770, v27
	v_mul_f16_e32 v71, 0x3b15, v33
	v_mul_f16_e32 v75, 0xba95, v27
	v_mul_f16_e32 v79, 0x388b, v33
	v_mul_f16_e32 v81, 0xbbf1, v27
	v_mul_f16_e32 v121, 0x2fb7, v33
	v_mul_f16_e32 v123, 0xbb7b, v27
	v_mul_f16_e32 v125, 0xb5ac, v33
	v_mul_f16_e32 v127, 0xb94e, v27
	v_mul_f16_e32 v129, 0xb9fd, v33
	v_mul_f16_e32 v27, 0xb3a8, v27
	v_mul_f16_e32 v33, 0xbbc4, v33
	v_add_f16_e32 v2, v2, v80
	v_fma_f16 v59, v32, s15, v35
	v_fma_f16 v73, v34, s16, v71
	v_fma_f16 v35, v32, s15, -v35
	v_fma_f16 v71, v34, s14, v71
	v_fma_f16 v77, v32, s12, v75
	v_fma_f16 v80, v34, s13, v79
	v_fma_f16 v75, v32, s12, -v75
	v_fma_f16 v79, v34, s7, v79
	;; [unrolled: 4-line block ×6, first 2 shown]
	v_add_f16_e32 v33, v112, v26
	v_sub_f16_e32 v26, v112, v26
	v_add_f16_e32 v59, v0, v59
	v_add_f16_sdwa v73, v0, v73 dst_sel:DWORD dst_unused:UNUSED_PAD src0_sel:WORD_1 src1_sel:DWORD
	v_add_f16_e32 v35, v0, v35
	v_add_f16_sdwa v71, v0, v71 dst_sel:DWORD dst_unused:UNUSED_PAD src0_sel:WORD_1 src1_sel:DWORD
	;; [unrolled: 2-line block ×12, first 2 shown]
	v_add_f16_e32 v32, v138, v119
	v_mul_f16_e32 v112, 0xba95, v26
	v_sub_f16_e32 v34, v138, v119
	v_fma_f16 v119, v32, s12, v112
	v_add_f16_e32 v59, v119, v59
	v_mul_f16_e32 v119, 0x388b, v33
	v_fma_f16 v112, v32, s12, -v112
	v_add_f16_e32 v35, v112, v35
	v_fma_f16 v112, v34, s7, v119
	v_add_f16_e32 v71, v112, v71
	v_mul_f16_e32 v112, 0xbb7b, v26
	v_fma_f16 v133, v34, s13, v119
	v_fma_f16 v119, v32, s18, v112
	v_add_f16_e32 v77, v119, v77
	v_mul_f16_e32 v119, 0xb5ac, v33
	v_fma_f16 v112, v32, s18, -v112
	v_add_f16_e32 v75, v112, v75
	v_fma_f16 v112, v34, s17, v119
	v_add_f16_e32 v79, v112, v79
	v_mul_f16_e32 v112, 0xb3a8, v26
	v_add_f16_e32 v73, v133, v73
	v_fma_f16 v133, v34, s19, v119
	v_fma_f16 v119, v32, s24, v112
	v_add_f16_e32 v111, v119, v111
	v_mul_f16_e32 v119, 0xbbc4, v33
	v_fma_f16 v112, v32, s24, -v112
	v_add_f16_e32 v80, v133, v80
	v_fma_f16 v133, v34, s25, v119
	v_add_f16_e32 v81, v112, v81
	v_fma_f16 v112, v34, s23, v119
	v_mul_f16_e32 v119, 0x394e, v26
	v_add_f16_e32 v112, v112, v121
	v_fma_f16 v121, v32, s21, v119
	v_add_f16_e32 v121, v121, v124
	v_mul_f16_e32 v124, 0xb9fd, v33
	v_fma_f16 v119, v32, s21, -v119
	v_add_f16_e32 v122, v133, v122
	v_fma_f16 v133, v34, s20, v124
	v_add_f16_e32 v119, v119, v123
	v_fma_f16 v123, v34, s22, v124
	v_mul_f16_e32 v124, 0x3bf1, v26
	v_add_f16_e32 v123, v123, v125
	v_fma_f16 v125, v32, s5, v124
	v_add_f16_e32 v125, v125, v128
	v_mul_f16_e32 v128, 0x2fb7, v33
	v_fma_f16 v124, v32, s5, -v124
	v_mul_f16_e32 v26, 0x3770, v26
	v_add_f16_e32 v126, v133, v126
	v_fma_f16 v133, v34, s4, v128
	v_add_f16_e32 v124, v124, v127
	v_fma_f16 v127, v34, s6, v128
	v_fma_f16 v128, v32, s15, v26
	v_mul_f16_e32 v33, 0x3b15, v33
	v_fma_f16 v26, v32, s15, -v26
	v_add_f16_e32 v127, v127, v129
	v_fma_f16 v129, v34, s14, v33
	v_add_f16_e32 v26, v26, v27
	v_fma_f16 v27, v34, s16, v33
	v_sub_f16_e32 v34, v113, v78
	v_add_f16_e32 v0, v27, v0
	v_add_f16_e32 v27, v139, v118
	v_add_f16_e32 v32, v113, v78
	v_mul_f16_e32 v78, 0xbbf1, v34
	v_fma_f16 v113, v27, s5, v78
	v_sub_f16_e32 v33, v139, v118
	v_add_f16_e32 v59, v113, v59
	v_mul_f16_e32 v113, 0x2fb7, v32
	v_fma_f16 v78, v27, s5, -v78
	v_add_f16_e32 v35, v78, v35
	v_fma_f16 v78, v33, s4, v113
	v_add_f16_e32 v71, v78, v71
	v_mul_f16_e32 v78, 0xb3a8, v34
	v_fma_f16 v118, v33, s6, v113
	v_fma_f16 v113, v27, s24, v78
	v_add_f16_e32 v77, v113, v77
	v_mul_f16_e32 v113, 0xbbc4, v32
	v_fma_f16 v78, v27, s24, -v78
	v_add_f16_e32 v75, v78, v75
	v_fma_f16 v78, v33, s23, v113
	v_add_f16_e32 v78, v78, v79
	v_mul_f16_e32 v79, 0x3b7b, v34
	v_add_f16_e32 v73, v118, v73
	v_fma_f16 v118, v33, s25, v113
	v_fma_f16 v113, v27, s18, v79
	v_add_f16_e32 v111, v113, v111
	v_mul_f16_e32 v113, 0xb5ac, v32
	v_fma_f16 v79, v27, s18, -v79
	v_add_f16_e32 v79, v79, v81
	v_fma_f16 v81, v33, s19, v113
	v_add_f16_e32 v81, v81, v112
	v_mul_f16_e32 v112, 0x3770, v34
	v_add_f16_e32 v80, v118, v80
	v_fma_f16 v118, v33, s17, v113
	v_fma_f16 v113, v27, s15, v112
	v_add_f16_e32 v113, v113, v121
	v_mul_f16_e32 v121, 0x3b15, v32
	v_fma_f16 v112, v27, s15, -v112
	v_add_f16_e32 v118, v118, v122
	v_fma_f16 v122, v33, s14, v121
	v_add_f16_e32 v112, v112, v119
	v_fma_f16 v119, v33, s16, v121
	v_mul_f16_e32 v121, 0xba95, v34
	v_add_f16_e32 v119, v119, v123
	v_fma_f16 v123, v27, s12, v121
	v_add_f16_e32 v123, v123, v125
	v_mul_f16_e32 v125, 0x388b, v32
	v_fma_f16 v121, v27, s12, -v121
	v_mul_f16_e32 v34, 0xb94e, v34
	v_add_f16_e32 v122, v122, v126
	v_fma_f16 v126, v33, s13, v125
	v_add_f16_e32 v121, v121, v124
	v_fma_f16 v124, v33, s7, v125
	v_fma_f16 v125, v27, s21, v34
	v_mul_f16_e32 v32, 0xb9fd, v32
	v_fma_f16 v27, v27, s21, -v34
	v_add_f16_e32 v26, v27, v26
	v_fma_f16 v27, v33, s20, v32
	v_sub_f16_e32 v34, v114, v76
	v_add_f16_e32 v124, v124, v127
	v_fma_f16 v127, v33, s22, v32
	v_add_f16_e32 v0, v27, v0
	v_add_f16_e32 v27, v140, v74
	v_sub_f16_e32 v33, v140, v74
	v_mul_f16_e32 v74, 0xbb7b, v34
	v_add_f16_e32 v32, v114, v76
	v_fma_f16 v76, v27, s18, v74
	v_add_f16_e32 v59, v76, v59
	v_mul_f16_e32 v76, 0xb5ac, v32
	v_fma_f16 v74, v27, s18, -v74
	v_add_f16_e32 v35, v74, v35
	v_fma_f16 v74, v33, s17, v76
	v_add_f16_e32 v71, v74, v71
	v_mul_f16_e32 v74, 0x394e, v34
	v_fma_f16 v114, v33, s19, v76
	v_fma_f16 v76, v27, s21, v74
	v_add_f16_e32 v76, v76, v77
	v_mul_f16_e32 v77, 0xb9fd, v32
	v_fma_f16 v74, v27, s21, -v74
	v_add_f16_e32 v73, v114, v73
	v_fma_f16 v114, v33, s20, v77
	v_add_f16_e32 v74, v74, v75
	v_fma_f16 v75, v33, s22, v77
	v_mul_f16_e32 v77, 0x3770, v34
	v_add_f16_e32 v75, v75, v78
	v_fma_f16 v78, v27, s15, v77
	v_add_f16_e32 v78, v78, v111
	v_mul_f16_e32 v111, 0x3b15, v32
	v_fma_f16 v77, v27, s15, -v77
	v_add_f16_e32 v77, v77, v79
	v_fma_f16 v79, v33, s16, v111
	v_add_f16_e32 v79, v79, v81
	v_mul_f16_e32 v81, 0xbbf1, v34
	v_add_f16_e32 v80, v114, v80
	v_fma_f16 v114, v33, s14, v111
	v_fma_f16 v111, v27, s5, v81
	v_add_f16_e32 v111, v111, v113
	v_mul_f16_e32 v113, 0x2fb7, v32
	v_fma_f16 v81, v27, s5, -v81
	v_add_f16_e32 v114, v114, v118
	v_fma_f16 v118, v33, s6, v113
	v_add_f16_e32 v81, v81, v112
	v_fma_f16 v112, v33, s4, v113
	v_mul_f16_e32 v113, 0x33a8, v34
	v_add_f16_e32 v118, v118, v122
	v_add_f16_e32 v112, v112, v119
	v_fma_f16 v119, v27, s24, v113
	v_mul_f16_e32 v122, 0xbbc4, v32
	v_fma_f16 v113, v27, s24, -v113
	v_mul_f16_e32 v34, 0x3a95, v34
	v_add_f16_e32 v119, v119, v123
	v_fma_f16 v123, v33, s23, v122
	v_add_f16_e32 v113, v113, v121
	v_fma_f16 v121, v33, s25, v122
	v_fma_f16 v122, v27, s12, v34
	v_mul_f16_e32 v32, 0x388b, v32
	v_fma_f16 v27, v27, s12, -v34
	v_add_f16_e32 v121, v121, v124
	v_fma_f16 v124, v33, s7, v32
	v_add_f16_e32 v26, v27, v26
	v_fma_f16 v27, v33, s13, v32
	v_add_f16_e32 v32, v28, v31
	v_sub_f16_e32 v28, v28, v31
	v_add_f16_e32 v0, v27, v0
	v_add_f16_e32 v27, v141, v72
	v_mul_f16_e32 v31, 0xb94e, v28
	v_fma_f16 v34, v27, s21, v31
	v_sub_f16_e32 v33, v141, v72
	v_add_f16_e32 v34, v34, v59
	v_mul_f16_e32 v59, 0xb9fd, v32
	v_fma_f16 v31, v27, s21, -v31
	v_fma_f16 v72, v33, s22, v59
	v_add_f16_e32 v31, v31, v35
	v_fma_f16 v35, v33, s20, v59
	v_mul_f16_e32 v59, 0x3bf1, v28
	v_add_f16_e32 v72, v72, v73
	v_add_f16_e32 v35, v35, v71
	v_fma_f16 v71, v27, s5, v59
	v_mul_f16_e32 v73, 0x2fb7, v32
	v_fma_f16 v59, v27, s5, -v59
	v_add_f16_e32 v71, v71, v76
	v_fma_f16 v76, v33, s4, v73
	v_add_f16_e32 v59, v59, v74
	v_fma_f16 v73, v33, s6, v73
	v_mul_f16_e32 v74, 0xba95, v28
	v_add_f16_e32 v73, v73, v75
	v_fma_f16 v75, v27, s12, v74
	v_add_f16_e32 v75, v75, v78
	v_mul_f16_e32 v78, 0x388b, v32
	v_fma_f16 v74, v27, s12, -v74
	v_add_f16_e32 v76, v76, v80
	v_fma_f16 v80, v33, s13, v78
	v_add_f16_e32 v74, v74, v77
	v_fma_f16 v77, v33, s7, v78
	v_mul_f16_e32 v78, 0x33a8, v28
	v_add_f16_e32 v77, v77, v79
	v_fma_f16 v79, v27, s24, v78
	v_add_f16_e32 v79, v79, v111
	v_mul_f16_e32 v111, 0xbbc4, v32
	v_fma_f16 v78, v27, s24, -v78
	v_add_f16_e32 v80, v80, v114
	v_fma_f16 v114, v33, s23, v111
	v_add_f16_e32 v78, v78, v81
	v_fma_f16 v81, v33, s25, v111
	v_mul_f16_e32 v111, 0x3770, v28
	v_add_f16_e32 v114, v114, v118
	v_add_f16_e32 v81, v81, v112
	v_fma_f16 v112, v27, s15, v111
	v_mul_f16_e32 v118, 0x3b15, v32
	v_fma_f16 v111, v27, s15, -v111
	v_mul_f16_e32 v28, 0xbb7b, v28
	v_add_f16_e32 v112, v112, v119
	v_fma_f16 v119, v33, s14, v118
	v_add_f16_e32 v111, v111, v113
	v_fma_f16 v113, v33, s16, v118
	v_fma_f16 v118, v27, s18, v28
	v_mul_f16_e32 v32, 0xb5ac, v32
	v_fma_f16 v27, v27, s18, -v28
	v_add_f16_e32 v26, v27, v26
	v_fma_f16 v27, v33, s17, v32
	v_add_f16_e32 v28, v29, v30
	v_sub_f16_e32 v29, v29, v30
	v_add_f16_e32 v0, v27, v0
	v_add_f16_e32 v27, v115, v58
	v_mul_f16_e32 v30, 0xb3a8, v29
	v_add_f16_e32 v113, v113, v121
	v_fma_f16 v121, v33, s19, v32
	v_fma_f16 v33, v27, s24, v30
	v_sub_f16_e32 v32, v115, v58
	v_add_f16_e32 v33, v33, v34
	v_mul_f16_e32 v34, 0xbbc4, v28
	v_fma_f16 v30, v27, s24, -v30
	v_fma_f16 v58, v32, s25, v34
	v_add_f16_e32 v30, v30, v31
	v_fma_f16 v31, v32, s23, v34
	v_mul_f16_e32 v34, 0x3770, v29
	v_add_f16_e32 v31, v31, v35
	v_fma_f16 v35, v27, s15, v34
	v_add_f16_e32 v35, v35, v71
	v_mul_f16_e32 v71, 0x3b15, v28
	v_fma_f16 v34, v27, s15, -v34
	v_add_f16_e32 v58, v58, v72
	v_fma_f16 v72, v32, s14, v71
	v_add_f16_e32 v34, v34, v59
	v_fma_f16 v59, v32, s16, v71
	v_mul_f16_e32 v71, 0xb94e, v29
	v_add_f16_e32 v59, v59, v73
	v_fma_f16 v73, v27, s21, v71
	v_add_f16_e32 v73, v73, v75
	v_mul_f16_e32 v75, 0xb9fd, v28
	v_fma_f16 v71, v27, s21, -v71
	v_add_f16_e32 v72, v72, v76
	;; [unrolled: 10-line block ×3, first 2 shown]
	v_fma_f16 v80, v32, s7, v79
	v_add_f16_e32 v75, v75, v78
	v_fma_f16 v78, v32, s13, v79
	v_mul_f16_e32 v79, 0xbb7b, v29
	v_add_f16_e32 v78, v78, v81
	v_fma_f16 v81, v27, s18, v79
	v_add_f16_e32 v81, v81, v112
	v_mul_f16_e32 v112, 0xb5ac, v28
	v_fma_f16 v79, v27, s18, -v79
	v_mul_f16_e32 v29, 0x3bf1, v29
	v_add_f16_e32 v80, v80, v114
	v_fma_f16 v114, v32, s19, v112
	v_add_f16_e32 v79, v79, v111
	v_fma_f16 v111, v32, s17, v112
	v_fma_f16 v112, v27, s5, v29
	v_mul_f16_e32 v28, 0x2fb7, v28
	v_fma_f16 v27, v27, s5, -v29
	v_add_f16_e32 v29, v27, v26
	v_fma_f16 v26, v32, s6, v28
	v_add_f16_sdwa v27, v1, v120 dst_sel:DWORD dst_unused:UNUSED_PAD src0_sel:WORD_1 src1_sel:DWORD
	v_add_f16_e32 v0, v26, v0
	v_add_f16_e32 v26, v1, v70
	;; [unrolled: 1-line block ×32, first 2 shown]
	v_fma_f16 v113, v32, s4, v28
	v_add_f16_e32 v26, v26, v20
	v_add_f16_e32 v32, v27, v23
	;; [unrolled: 1-line block ×3, first 2 shown]
	v_sub_f16_e32 v23, v120, v23
	v_add_f16_e32 v119, v119, v123
	v_add_f16_e32 v121, v121, v124
	;; [unrolled: 1-line block ×5, first 2 shown]
	v_sub_f16_e32 v22, v70, v22
	v_mul_f16_e32 v70, 0xb770, v23
	v_mul_f16_e32 v118, 0x3b15, v27
	;; [unrolled: 1-line block ×12, first 2 shown]
	v_add_f16_e32 v114, v114, v119
	v_add_f16_e32 v113, v113, v121
	v_fma_f16 v115, v26, s15, v70
	v_fma_f16 v119, v22, s16, v118
	v_fma_f16 v70, v26, s15, -v70
	v_fma_f16 v118, v22, s14, v118
	v_fma_f16 v121, v26, s12, v120
	v_fma_f16 v123, v22, s13, v122
	v_fma_f16 v120, v26, s12, -v120
	v_fma_f16 v122, v22, s7, v122
	;; [unrolled: 4-line block ×6, first 2 shown]
	v_add_f16_e32 v26, v25, v21
	v_sub_f16_e32 v21, v25, v21
	v_add_f16_e32 v115, v1, v115
	v_add_f16_sdwa v119, v1, v119 dst_sel:DWORD dst_unused:UNUSED_PAD src0_sel:WORD_1 src1_sel:DWORD
	v_add_f16_e32 v70, v1, v70
	v_add_f16_sdwa v118, v1, v118 dst_sel:DWORD dst_unused:UNUSED_PAD src0_sel:WORD_1 src1_sel:DWORD
	;; [unrolled: 2-line block ×12, first 2 shown]
	v_add_f16_e32 v22, v24, v20
	v_sub_f16_e32 v20, v24, v20
	v_mul_f16_e32 v24, 0xba95, v21
	v_fma_f16 v25, v22, s12, v24
	v_mul_f16_e32 v27, 0x388b, v26
	v_fma_f16 v24, v22, s12, -v24
	v_add_f16_e32 v25, v25, v115
	v_fma_f16 v115, v20, s13, v27
	v_add_f16_e32 v24, v24, v70
	v_fma_f16 v27, v20, s7, v27
	v_mul_f16_e32 v70, 0xbb7b, v21
	v_add_f16_e32 v115, v115, v119
	v_add_f16_e32 v27, v27, v118
	v_fma_f16 v118, v22, s18, v70
	v_mul_f16_e32 v119, 0xb5ac, v26
	v_fma_f16 v70, v22, s18, -v70
	v_add_f16_e32 v118, v118, v121
	v_fma_f16 v121, v20, s19, v119
	v_add_f16_e32 v70, v70, v120
	v_fma_f16 v119, v20, s17, v119
	v_mul_f16_e32 v120, 0xb3a8, v21
	v_add_f16_e32 v121, v121, v123
	v_add_f16_e32 v119, v119, v122
	;; [unrolled: 10-line block ×4, first 2 shown]
	v_fma_f16 v130, v22, s5, v128
	v_mul_f16_e32 v131, 0x2fb7, v26
	v_add_f16_e32 v130, v130, v133
	v_fma_f16 v133, v20, s4, v131
	v_fma_f16 v128, v22, s5, -v128
	v_fma_f16 v131, v20, s6, v131
	v_mul_f16_e32 v21, 0x3770, v21
	v_mul_f16_e32 v26, 0x3b15, v26
	v_add_f16_e32 v128, v128, v132
	v_add_f16_e32 v131, v131, v134
	v_fma_f16 v132, v22, s15, v21
	v_fma_f16 v134, v20, s14, v26
	v_fma_f16 v21, v22, s15, -v21
	v_fma_f16 v20, v20, s16, v26
	v_add_f16_e32 v22, v17, v19
	v_sub_f16_e32 v17, v17, v19
	v_add_f16_e32 v1, v20, v1
	v_add_f16_e32 v20, v16, v18
	v_sub_f16_e32 v16, v16, v18
	v_mul_f16_e32 v18, 0xbbf1, v17
	v_add_f16_e32 v21, v21, v23
	v_fma_f16 v19, v20, s5, v18
	v_mul_f16_e32 v23, 0x2fb7, v22
	v_fma_f16 v18, v20, s5, -v18
	v_add_f16_e32 v19, v19, v25
	v_fma_f16 v25, v16, s6, v23
	v_add_f16_e32 v18, v18, v24
	v_fma_f16 v23, v16, s4, v23
	v_mul_f16_e32 v24, 0xb3a8, v17
	v_add_f16_e32 v23, v23, v27
	v_fma_f16 v26, v20, s24, v24
	v_mul_f16_e32 v27, 0xbbc4, v22
	v_fma_f16 v24, v20, s24, -v24
	v_add_f16_e32 v25, v25, v115
	v_fma_f16 v115, v16, s25, v27
	v_add_f16_e32 v24, v24, v70
	v_fma_f16 v27, v16, s23, v27
	v_mul_f16_e32 v70, 0x3b7b, v17
	v_add_f16_e32 v26, v26, v118
	v_add_f16_e32 v27, v27, v119
	v_fma_f16 v118, v20, s18, v70
	v_mul_f16_e32 v119, 0xb5ac, v22
	v_fma_f16 v70, v20, s18, -v70
	v_add_f16_e32 v115, v115, v121
	v_fma_f16 v121, v16, s17, v119
	v_add_f16_e32 v70, v70, v120
	v_fma_f16 v119, v16, s19, v119
	v_mul_f16_e32 v120, 0x3770, v17
	v_add_f16_e32 v118, v118, v122
	;; [unrolled: 10-line block ×3, first 2 shown]
	v_add_f16_e32 v123, v123, v127
	v_fma_f16 v126, v20, s12, v124
	v_mul_f16_e32 v127, 0x388b, v22
	v_fma_f16 v124, v20, s12, -v124
	v_mul_f16_e32 v17, 0xb94e, v17
	v_mul_f16_e32 v22, 0xb9fd, v22
	v_add_f16_e32 v125, v125, v129
	v_add_f16_e32 v126, v126, v130
	v_fma_f16 v129, v16, s13, v127
	v_add_f16_e32 v124, v124, v128
	v_fma_f16 v127, v16, s7, v127
	v_fma_f16 v128, v20, s21, v17
	;; [unrolled: 1-line block ×3, first 2 shown]
	v_fma_f16 v17, v20, s21, -v17
	v_fma_f16 v16, v16, s20, v22
	v_add_f16_e32 v20, v13, v15
	v_sub_f16_e32 v13, v13, v15
	v_add_f16_e32 v1, v16, v1
	v_add_f16_e32 v16, v12, v14
	v_sub_f16_e32 v12, v12, v14
	v_mul_f16_e32 v14, 0xbb7b, v13
	v_fma_f16 v15, v16, s18, v14
	v_add_f16_e32 v15, v15, v19
	v_mul_f16_e32 v19, 0xb5ac, v20
	v_fma_f16 v14, v16, s18, -v14
	v_add_f16_e32 v17, v17, v21
	v_fma_f16 v21, v12, s19, v19
	v_add_f16_e32 v14, v14, v18
	v_fma_f16 v18, v12, s17, v19
	v_mul_f16_e32 v19, 0x394e, v13
	v_add_f16_e32 v18, v18, v23
	v_fma_f16 v22, v16, s21, v19
	v_mul_f16_e32 v23, 0xb9fd, v20
	v_fma_f16 v19, v16, s21, -v19
	v_add_f16_e32 v21, v21, v25
	v_fma_f16 v25, v12, s20, v23
	v_add_f16_e32 v19, v19, v24
	v_fma_f16 v23, v12, s22, v23
	v_mul_f16_e32 v24, 0x3770, v13
	v_add_f16_e32 v22, v22, v26
	v_add_f16_e32 v23, v23, v27
	v_fma_f16 v26, v16, s15, v24
	v_mul_f16_e32 v27, 0x3b15, v20
	v_fma_f16 v24, v16, s15, -v24
	v_add_f16_e32 v25, v25, v115
	v_fma_f16 v115, v12, s14, v27
	v_add_f16_e32 v24, v24, v70
	v_fma_f16 v27, v12, s16, v27
	v_mul_f16_e32 v70, 0xbbf1, v13
	v_add_f16_e32 v26, v26, v118
	;; [unrolled: 10-line block ×3, first 2 shown]
	v_add_f16_e32 v119, v119, v123
	v_fma_f16 v122, v16, s24, v120
	v_mul_f16_e32 v123, 0xbbc4, v20
	v_fma_f16 v120, v16, s24, -v120
	v_mul_f16_e32 v13, 0x3a95, v13
	v_mul_f16_e32 v20, 0x388b, v20
	v_add_f16_e32 v121, v121, v125
	v_add_f16_e32 v122, v122, v126
	v_fma_f16 v125, v12, s23, v123
	v_add_f16_e32 v120, v120, v124
	v_fma_f16 v123, v12, s25, v123
	v_fma_f16 v124, v16, s12, v13
	;; [unrolled: 1-line block ×3, first 2 shown]
	v_fma_f16 v13, v16, s12, -v13
	v_fma_f16 v12, v12, s13, v20
	v_add_f16_e32 v16, v9, v11
	v_sub_f16_e32 v9, v9, v11
	v_add_f16_e32 v1, v12, v1
	v_add_f16_e32 v12, v8, v10
	v_sub_f16_e32 v8, v8, v10
	v_mul_f16_e32 v10, 0xb94e, v9
	v_fma_f16 v11, v12, s21, v10
	v_add_f16_e32 v11, v11, v15
	v_mul_f16_e32 v15, 0xb9fd, v16
	v_fma_f16 v10, v12, s21, -v10
	v_add_f16_e32 v13, v13, v17
	v_fma_f16 v17, v8, s22, v15
	v_add_f16_e32 v10, v10, v14
	v_fma_f16 v14, v8, s20, v15
	v_mul_f16_e32 v15, 0x3bf1, v9
	v_add_f16_e32 v14, v14, v18
	v_fma_f16 v18, v12, s5, v15
	v_mul_f16_e32 v20, 0x2fb7, v16
	v_fma_f16 v15, v12, s5, -v15
	v_add_f16_e32 v17, v17, v21
	v_fma_f16 v21, v8, s4, v20
	v_add_f16_e32 v15, v15, v19
	v_fma_f16 v19, v8, s6, v20
	v_mul_f16_e32 v20, 0xba95, v9
	v_add_f16_e32 v18, v18, v22
	v_add_f16_e32 v19, v19, v23
	v_fma_f16 v22, v12, s12, v20
	v_mul_f16_e32 v23, 0x388b, v16
	v_fma_f16 v20, v12, s12, -v20
	v_add_f16_e32 v21, v21, v25
	v_fma_f16 v25, v8, s13, v23
	v_add_f16_e32 v20, v20, v24
	v_mul_f16_e32 v24, 0x33a8, v9
	v_add_f16_e32 v115, v25, v115
	v_fma_f16 v25, v12, s24, v24
	v_add_f16_e32 v118, v25, v118
	v_mul_f16_e32 v25, 0xbbc4, v16
	v_fma_f16 v24, v12, s24, -v24
	v_add_f16_e32 v70, v24, v70
	v_fma_f16 v24, v8, s25, v25
	v_add_f16_e32 v119, v24, v119
	v_mul_f16_e32 v24, 0x3770, v9
	v_add_f16_e32 v22, v22, v26
	v_fma_f16 v26, v8, s23, v25
	v_fma_f16 v25, v12, s15, v24
	v_add_f16_e32 v132, v132, v136
	v_add_f16_e32 v127, v127, v131
	;; [unrolled: 1-line block ×3, first 2 shown]
	v_mul_f16_e32 v25, 0x3b15, v16
	v_fma_f16 v24, v12, s15, -v24
	v_add_f16_e32 v128, v128, v132
	v_add_f16_e32 v123, v123, v127
	;; [unrolled: 1-line block ×3, first 2 shown]
	v_fma_f16 v24, v8, s16, v25
	v_mul_f16_e32 v9, 0xbb7b, v9
	v_add_f16_e32 v124, v124, v128
	v_add_f16_e32 v123, v24, v123
	v_fma_f16 v24, v12, s18, v9
	v_mul_f16_e32 v16, 0xb5ac, v16
	v_fma_f16 v23, v8, s7, v23
	v_add_f16_e32 v121, v26, v121
	v_fma_f16 v26, v8, s14, v25
	v_add_f16_e32 v124, v24, v124
	v_fma_f16 v24, v8, s19, v16
	v_fma_f16 v9, v12, s18, -v9
	v_fma_f16 v8, v8, s17, v16
	v_add_f16_e32 v12, v5, v7
	v_sub_f16_e32 v5, v5, v7
	v_add_f16_e32 v134, v134, v137
	v_add_f16_e32 v1, v8, v1
	;; [unrolled: 1-line block ×3, first 2 shown]
	v_sub_f16_e32 v4, v4, v6
	v_mul_f16_e32 v6, 0xb3a8, v5
	v_add_f16_e32 v130, v130, v134
	v_fma_f16 v7, v8, s24, v6
	v_add_f16_e32 v126, v126, v130
	v_add_f16_e32 v7, v7, v11
	v_mul_f16_e32 v11, 0xbbc4, v12
	v_fma_f16 v6, v8, s24, -v6
	v_pack_b32_f16 v2, v2, v3
	v_pack_b32_f16 v3, v33, v58
	v_add_f16_e32 v126, v24, v126
	v_add_f16_e32 v24, v6, v10
	v_fma_f16 v6, v4, s23, v11
	s_waitcnt lgkmcnt(0)
	; wave barrier
	ds_write2_b32 v116, v2, v3 offset1:26
	v_pack_b32_f16 v2, v35, v72
	v_pack_b32_f16 v3, v73, v76
	v_add_f16_e32 v133, v133, v135
	v_add_f16_e32 v23, v23, v27
	;; [unrolled: 1-line block ×3, first 2 shown]
	v_mul_f16_e32 v6, 0x3770, v5
	ds_write2_b32 v116, v2, v3 offset0:52 offset1:78
	v_pack_b32_f16 v2, v77, v80
	v_pack_b32_f16 v3, v81, v114
	v_add_f16_e32 v129, v129, v133
	v_add_f16_e32 v9, v9, v13
	v_fma_f16 v13, v4, s25, v11
	v_fma_f16 v10, v8, s15, v6
	v_mul_f16_e32 v11, 0x3b15, v12
	v_fma_f16 v6, v8, s15, -v6
	ds_write2_b32 v116, v2, v3 offset0:104 offset1:130
	v_pack_b32_f16 v2, v112, v113
	v_pack_b32_f16 v0, v29, v0
	v_add_f16_e32 v125, v125, v129
	v_add_f16_e32 v25, v6, v15
	v_fma_f16 v6, v4, s16, v11
	v_mul_f16_e32 v15, 0xb9fd, v12
	ds_write2_b32 v116, v2, v0 offset0:156 offset1:182
	v_pack_b32_f16 v0, v79, v111
	v_pack_b32_f16 v2, v75, v78
	v_add_f16_e32 v125, v26, v125
	v_add_f16_e32 v13, v13, v17
	v_fma_f16 v14, v4, s14, v11
	v_add_f16_e32 v26, v6, v19
	v_mul_f16_e32 v6, 0xb94e, v5
	v_fma_f16 v16, v4, s22, v15
	v_fma_f16 v15, v4, s20, v15
	v_mul_f16_e32 v17, 0x3a95, v5
	ds_write2_b32 v116, v0, v2 offset0:208 offset1:234
	v_pack_b32_f16 v0, v71, v74
	v_pack_b32_f16 v2, v34, v59
	v_add_u32_e32 v3, 0x400, v116
	v_add_f16_e32 v10, v10, v18
	v_add_f16_e32 v14, v14, v21
	v_fma_f16 v11, v8, s21, v6
	v_fma_f16 v6, v8, s21, -v6
	v_add_f16_e32 v15, v15, v23
	v_fma_f16 v18, v8, s12, v17
	v_mul_f16_e32 v19, 0x388b, v12
	v_fma_f16 v17, v8, s12, -v17
	v_mul_f16_e32 v21, 0xbb7b, v5
	v_mul_f16_e32 v23, 0xb5ac, v12
	ds_write2_b32 v3, v0, v2 offset0:4 offset1:30
	v_pack_b32_f16 v0, v30, v31
	v_add_f16_e32 v11, v11, v22
	v_add_f16_e32 v16, v16, v115
	;; [unrolled: 1-line block ×3, first 2 shown]
	v_fma_f16 v20, v4, s7, v19
	v_add_f16_e32 v17, v17, v70
	v_fma_f16 v22, v8, s18, v21
	v_fma_f16 v70, v4, s19, v23
	v_mul_f16_e32 v5, 0x3bf1, v5
	v_mul_f16_e32 v12, 0x2fb7, v12
	ds_write_b32 v116, v0 offset:1248
	v_pack_b32_f16 v0, v28, v32
	v_pack_b32_f16 v2, v7, v13
	v_add_f16_e32 v18, v18, v118
	v_add_f16_e32 v20, v20, v121
	v_fma_f16 v19, v4, s13, v19
	v_add_f16_e32 v22, v22, v122
	v_add_f16_e32 v70, v70, v125
	v_fma_f16 v23, v4, s17, v23
	v_fma_f16 v115, v8, s5, v5
	;; [unrolled: 1-line block ×3, first 2 shown]
	v_fma_f16 v5, v8, s5, -v5
	v_fma_f16 v4, v4, s6, v12
	ds_write2_b32 v117, v0, v2 offset1:26
	v_pack_b32_f16 v0, v10, v14
	v_pack_b32_f16 v2, v11, v16
	v_fma_f16 v21, v8, s18, -v21
	v_add_f16_e32 v115, v115, v124
	v_add_f16_e32 v118, v118, v126
	;; [unrolled: 1-line block ×4, first 2 shown]
	ds_write2_b32 v117, v0, v2 offset0:52 offset1:78
	v_pack_b32_f16 v0, v18, v20
	v_pack_b32_f16 v2, v22, v70
	v_add_f16_e32 v19, v19, v119
	v_add_f16_e32 v21, v21, v120
	;; [unrolled: 1-line block ×3, first 2 shown]
	ds_write2_b32 v117, v0, v2 offset0:104 offset1:130
	v_pack_b32_f16 v0, v115, v118
	v_pack_b32_f16 v1, v5, v1
	ds_write2_b32 v117, v0, v1 offset0:156 offset1:182
	v_pack_b32_f16 v0, v21, v23
	v_pack_b32_f16 v1, v17, v19
	;; [unrolled: 3-line block ×3, first 2 shown]
	v_add_u32_e32 v2, 0x400, v117
	ds_write2_b32 v2, v0, v1 offset0:4 offset1:30
	v_pack_b32_f16 v0, v24, v27
	ds_write_b32 v117, v0 offset:1248
	s_waitcnt lgkmcnt(0)
	; wave barrier
	s_waitcnt lgkmcnt(0)
	ds_read2_b32 v[4:5], v82 offset1:52
	ds_read2_b32 v[22:23], v66 offset0:82 offset1:134
	ds_read2_b32 v[20:21], v68 offset0:164 offset1:216
	;; [unrolled: 1-line block ×11, first 2 shown]
	s_and_saveexec_b64 s[4:5], s[0:1]
	s_cbranch_execz .LBB0_7
; %bb.6:
	ds_read_b32 v25, v82 offset:1248
	ds_read_b32 v24, v82 offset:2600
	;; [unrolled: 1-line block ×4, first 2 shown]
	s_waitcnt lgkmcnt(3)
	v_lshrrev_b32_e32 v26, 16, v25
	s_waitcnt lgkmcnt(2)
	v_lshrrev_b32_e32 v27, 16, v24
	;; [unrolled: 2-line block ×4, first 2 shown]
.LBB0_7:
	s_or_b64 exec, exec, s[4:5]
	s_waitcnt lgkmcnt(10)
	v_lshrrev_b32_e32 v29, 16, v22
	v_mul_f16_sdwa v78, v39, v29 dst_sel:DWORD dst_unused:UNUSED_PAD src0_sel:WORD_1 src1_sel:DWORD
	s_waitcnt lgkmcnt(9)
	v_lshrrev_b32_e32 v30, 16, v20
	v_fma_f16 v78, v39, v22, v78
	v_mul_f16_sdwa v22, v39, v22 dst_sel:DWORD dst_unused:UNUSED_PAD src0_sel:WORD_1 src1_sel:DWORD
	v_fma_f16 v22, v39, v29, -v22
	v_mul_f16_sdwa v29, v40, v30 dst_sel:DWORD dst_unused:UNUSED_PAD src0_sel:WORD_1 src1_sel:DWORD
	s_waitcnt lgkmcnt(8)
	v_lshrrev_b32_e32 v31, 16, v18
	v_fma_f16 v29, v40, v20, v29
	v_mul_f16_sdwa v20, v40, v20 dst_sel:DWORD dst_unused:UNUSED_PAD src0_sel:WORD_1 src1_sel:DWORD
	v_fma_f16 v20, v40, v30, -v20
	v_mul_f16_sdwa v30, v41, v31 dst_sel:DWORD dst_unused:UNUSED_PAD src0_sel:WORD_1 src1_sel:DWORD
	v_lshrrev_b32_e32 v33, 16, v23
	v_fma_f16 v30, v41, v18, v30
	v_mul_f16_sdwa v18, v41, v18 dst_sel:DWORD dst_unused:UNUSED_PAD src0_sel:WORD_1 src1_sel:DWORD
	v_fma_f16 v18, v41, v31, -v18
	v_mul_f16_sdwa v31, v42, v33 dst_sel:DWORD dst_unused:UNUSED_PAD src0_sel:WORD_1 src1_sel:DWORD
	;; [unrolled: 5-line block ×3, first 2 shown]
	v_lshrrev_b32_e32 v35, 16, v19
	v_fma_f16 v33, v43, v21, v33
	v_mul_f16_sdwa v21, v43, v21 dst_sel:DWORD dst_unused:UNUSED_PAD src0_sel:WORD_1 src1_sel:DWORD
	s_waitcnt lgkmcnt(5)
	v_lshrrev_b32_e32 v64, 16, v14
	v_lshrrev_b32_e32 v67, 16, v17
	;; [unrolled: 1-line block ×3, first 2 shown]
	s_waitcnt lgkmcnt(4)
	v_lshrrev_b32_e32 v69, 16, v13
	v_fma_f16 v21, v43, v34, -v21
	v_mul_f16_sdwa v34, v44, v35 dst_sel:DWORD dst_unused:UNUSED_PAD src0_sel:WORD_1 src1_sel:DWORD
	v_lshrrev_b32_e32 v59, 16, v16
	v_fma_f16 v34, v44, v19, v34
	v_mul_f16_sdwa v19, v44, v19 dst_sel:DWORD dst_unused:UNUSED_PAD src0_sel:WORD_1 src1_sel:DWORD
	v_mul_f16_sdwa v39, v46, v64 dst_sel:DWORD dst_unused:UNUSED_PAD src0_sel:WORD_1 src1_sel:DWORD
	;; [unrolled: 1-line block ×5, first 2 shown]
	v_lshrrev_b32_e32 v65, 16, v12
	s_waitcnt lgkmcnt(2)
	v_lshrrev_b32_e32 v71, 16, v10
	s_waitcnt lgkmcnt(0)
	v_lshrrev_b32_e32 v73, 16, v6
	v_fma_f16 v19, v44, v35, -v19
	v_mul_f16_sdwa v35, v45, v59 dst_sel:DWORD dst_unused:UNUSED_PAD src0_sel:WORD_1 src1_sel:DWORD
	v_fma_f16 v39, v46, v14, v39
	v_mul_f16_sdwa v14, v46, v14 dst_sel:DWORD dst_unused:UNUSED_PAD src0_sel:WORD_1 src1_sel:DWORD
	v_fma_f16 v41, v48, v17, v41
	v_fma_f16 v42, v49, v15, v42
	;; [unrolled: 1-line block ×3, first 2 shown]
	v_lshrrev_b32_e32 v72, 16, v8
	v_fma_f16 v35, v45, v16, v35
	v_mul_f16_sdwa v16, v45, v16 dst_sel:DWORD dst_unused:UNUSED_PAD src0_sel:WORD_1 src1_sel:DWORD
	v_fma_f16 v14, v46, v64, -v14
	v_mul_f16_sdwa v40, v47, v65 dst_sel:DWORD dst_unused:UNUSED_PAD src0_sel:WORD_1 src1_sel:DWORD
	v_mul_f16_sdwa v44, v51, v71 dst_sel:DWORD dst_unused:UNUSED_PAD src0_sel:WORD_1 src1_sel:DWORD
	;; [unrolled: 1-line block ×3, first 2 shown]
	v_sub_f16_e32 v42, v3, v42
	v_sub_f16_e32 v43, v41, v43
	v_lshrrev_b32_e32 v66, 16, v3
	v_lshrrev_b32_e32 v75, 16, v11
	;; [unrolled: 1-line block ×3, first 2 shown]
	v_fma_f16 v16, v45, v59, -v16
	v_fma_f16 v40, v47, v12, v40
	v_mul_f16_sdwa v12, v47, v12 dst_sel:DWORD dst_unused:UNUSED_PAD src0_sel:WORD_1 src1_sel:DWORD
	v_mul_f16_sdwa v15, v49, v15 dst_sel:DWORD dst_unused:UNUSED_PAD src0_sel:WORD_1 src1_sel:DWORD
	v_fma_f16 v44, v51, v10, v44
	v_mul_f16_sdwa v10, v51, v10 dst_sel:DWORD dst_unused:UNUSED_PAD src0_sel:WORD_1 src1_sel:DWORD
	v_mul_f16_sdwa v45, v52, v72 dst_sel:DWORD dst_unused:UNUSED_PAD src0_sel:WORD_1 src1_sel:DWORD
	v_fma_f16 v46, v53, v6, v46
	v_mul_f16_sdwa v6, v53, v6 dst_sel:DWORD dst_unused:UNUSED_PAD src0_sel:WORD_1 src1_sel:DWORD
	v_fma_f16 v3, v3, 2.0, -v42
	v_fma_f16 v41, v41, 2.0, -v43
	v_lshrrev_b32_e32 v28, 16, v4
	v_lshrrev_b32_e32 v76, 16, v9
	v_fma_f16 v12, v47, v65, -v12
	v_mul_f16_sdwa v17, v48, v17 dst_sel:DWORD dst_unused:UNUSED_PAD src0_sel:WORD_1 src1_sel:DWORD
	v_fma_f16 v15, v49, v68, -v15
	v_fma_f16 v10, v51, v71, -v10
	v_fma_f16 v45, v52, v8, v45
	v_fma_f16 v6, v53, v73, -v6
	v_mul_f16_sdwa v47, v54, v75 dst_sel:DWORD dst_unused:UNUSED_PAD src0_sel:WORD_1 src1_sel:DWORD
	v_mul_f16_sdwa v49, v56, v77 dst_sel:DWORD dst_unused:UNUSED_PAD src0_sel:WORD_1 src1_sel:DWORD
	v_sub_f16_e32 v41, v3, v41
	v_fma_f16 v17, v48, v67, -v17
	v_mul_f16_sdwa v13, v50, v13 dst_sel:DWORD dst_unused:UNUSED_PAD src0_sel:WORD_1 src1_sel:DWORD
	v_fma_f16 v47, v54, v11, v47
	v_mul_f16_sdwa v11, v54, v11 dst_sel:DWORD dst_unused:UNUSED_PAD src0_sel:WORD_1 src1_sel:DWORD
	v_mul_f16_sdwa v48, v55, v76 dst_sel:DWORD dst_unused:UNUSED_PAD src0_sel:WORD_1 src1_sel:DWORD
	v_fma_f16 v49, v56, v7, v49
	v_mul_f16_sdwa v7, v56, v7 dst_sel:DWORD dst_unused:UNUSED_PAD src0_sel:WORD_1 src1_sel:DWORD
	v_sub_f16_e32 v29, v4, v29
	v_sub_f16_e32 v20, v28, v20
	;; [unrolled: 1-line block ×4, first 2 shown]
	v_fma_f16 v53, v3, 2.0, -v41
	v_sub_f16_e32 v3, v0, v45
	v_sub_f16_e32 v6, v10, v6
	v_fma_f16 v13, v50, v69, -v13
	v_fma_f16 v11, v54, v75, -v11
	v_fma_f16 v48, v55, v9, v48
	v_mul_f16_sdwa v9, v55, v9 dst_sel:DWORD dst_unused:UNUSED_PAD src0_sel:WORD_1 src1_sel:DWORD
	v_fma_f16 v7, v56, v77, -v7
	v_fma_f16 v4, v4, 2.0, -v29
	v_fma_f16 v28, v28, 2.0, -v20
	;; [unrolled: 1-line block ×4, first 2 shown]
	v_add_f16_e32 v54, v3, v6
	v_lshrrev_b32_e32 v32, 16, v5
	v_lshrrev_b32_e32 v70, 16, v0
	v_fma_f16 v9, v55, v76, -v9
	v_sub_f16_e32 v50, v4, v50
	v_sub_f16_e32 v22, v28, v22
	v_add_f16_e32 v18, v29, v18
	v_sub_f16_e32 v30, v20, v30
	v_fma_f16 v0, v0, 2.0, -v3
	v_fma_f16 v55, v3, 2.0, -v54
	v_sub_f16_e32 v3, v1, v48
	v_sub_f16_e32 v7, v11, v7
	v_fma_f16 v4, v4, 2.0, -v50
	v_fma_f16 v28, v28, 2.0, -v22
	;; [unrolled: 1-line block ×4, first 2 shown]
	v_sub_f16_e32 v33, v5, v33
	v_sub_f16_e32 v21, v32, v21
	;; [unrolled: 1-line block ×5, first 2 shown]
	v_add_f16_e32 v49, v3, v7
	v_lshrrev_b32_e32 v58, 16, v2
	v_lshrrev_b32_e32 v74, 16, v1
	v_fma_f16 v5, v5, 2.0, -v33
	v_fma_f16 v32, v32, 2.0, -v21
	v_fma_f16 v31, v31, 2.0, -v34
	v_fma_f16 v23, v23, 2.0, -v19
	v_fma_f16 v1, v1, 2.0, -v3
	v_fma_f16 v56, v3, 2.0, -v49
	v_pack_b32_f16 v3, v4, v28
	v_pack_b32_f16 v4, v29, v20
	v_sub_f16_e32 v31, v5, v31
	v_sub_f16_e32 v23, v32, v23
	;; [unrolled: 1-line block ×6, first 2 shown]
	ds_write_b32 v82, v4 offset:1352
	v_pack_b32_f16 v4, v50, v22
	v_mul_f16_sdwa v8, v52, v8 dst_sel:DWORD dst_unused:UNUSED_PAD src0_sel:WORD_1 src1_sel:DWORD
	v_fma_f16 v5, v5, 2.0, -v31
	v_fma_f16 v32, v32, 2.0, -v23
	v_add_f16_e32 v19, v33, v19
	v_sub_f16_e32 v34, v21, v34
	v_fma_f16 v35, v35, 2.0, -v40
	v_fma_f16 v16, v16, 2.0, -v12
	v_add_f16_e32 v12, v39, v12
	v_sub_f16_e32 v40, v14, v40
	v_sub_f16_e32 v15, v66, v15
	;; [unrolled: 1-line block ×3, first 2 shown]
	v_fma_f16 v10, v10, 2.0, -v6
	v_sub_f16_e32 v6, v74, v9
	ds_write_b32 v82, v4 offset:2704
	v_pack_b32_f16 v4, v18, v30
	v_fma_f16 v8, v52, v72, -v8
	v_fma_f16 v33, v33, 2.0, -v19
	v_fma_f16 v21, v21, 2.0, -v34
	;; [unrolled: 1-line block ×9, first 2 shown]
	v_sub_f16_e32 v48, v6, v48
	ds_write_b32 v82, v4 offset:4056
	v_pack_b32_f16 v4, v5, v32
	v_sub_f16_e32 v35, v2, v35
	v_sub_f16_e32 v16, v51, v16
	;; [unrolled: 1-line block ×3, first 2 shown]
	v_fma_f16 v9, v74, 2.0, -v6
	v_fma_f16 v58, v6, 2.0, -v48
	ds_write2_b32 v82, v3, v4 offset1:52
	v_pack_b32_f16 v3, v33, v21
	v_pack_b32_f16 v4, v31, v23
	;; [unrolled: 1-line block ×3, first 2 shown]
	v_add_u32_e32 v5, 0x400, v82
	v_fma_f16 v2, v2, 2.0, -v35
	v_fma_f16 v51, v51, 2.0, -v16
	;; [unrolled: 1-line block ×3, first 2 shown]
	ds_write_b32 v82, v4 offset:2912
	v_pack_b32_f16 v4, v19, v34
	ds_write2_b32 v5, v3, v6 offset0:134 offset1:186
	v_pack_b32_f16 v6, v12, v40
	v_add_u32_e32 v3, 0x1000, v82
	v_sub_f16_e32 v8, v70, v8
	v_sub_f16_e32 v46, v44, v46
	v_pack_b32_f16 v2, v2, v51
	ds_write2_b32 v3, v4, v6 offset0:42 offset1:94
	v_pack_b32_f16 v4, v53, v52
	v_add_f16_e32 v13, v42, v13
	v_sub_f16_e32 v43, v15, v43
	v_fma_f16 v45, v70, 2.0, -v8
	v_fma_f16 v44, v44, 2.0, -v46
	v_sub_f16_e32 v46, v8, v46
	v_fma_f16 v11, v11, 2.0, -v7
	v_pack_b32_f16 v7, v35, v16
	ds_write2_b32 v82, v2, v4 offset0:104 offset1:156
	v_pack_b32_f16 v4, v41, v17
	v_add_u32_e32 v6, 0xc00, v82
	v_fma_f16 v42, v42, 2.0, -v13
	v_fma_f16 v15, v15, 2.0, -v43
	v_sub_f16_e32 v44, v0, v44
	v_sub_f16_e32 v10, v45, v10
	v_fma_f16 v8, v8, 2.0, -v46
	v_sub_f16_e32 v47, v1, v47
	v_sub_f16_e32 v11, v9, v11
	ds_write2_b32 v6, v7, v4 offset0:12 offset1:64
	v_pack_b32_f16 v4, v13, v43
	v_fma_f16 v0, v0, 2.0, -v44
	v_fma_f16 v45, v45, 2.0, -v10
	;; [unrolled: 1-line block ×4, first 2 shown]
	v_pack_b32_f16 v2, v42, v15
	ds_write_b32 v82, v4 offset:4680
	v_pack_b32_f16 v4, v55, v8
	v_add_u32_e32 v7, 0x600, v82
	v_pack_b32_f16 v0, v0, v45
	ds_write2_b32 v7, v2, v4 offset0:110 offset1:162
	v_pack_b32_f16 v1, v1, v9
	v_add_u32_e32 v7, 0x200, v82
	ds_write2_b32 v7, v0, v1 offset0:80 offset1:132
	v_pack_b32_f16 v0, v56, v58
	v_pack_b32_f16 v2, v44, v10
	ds_write_b32 v82, v0 offset:2392
	v_pack_b32_f16 v0, v47, v11
	v_pack_b32_f16 v4, v54, v46
	ds_write2_b32 v6, v2, v0 offset0:116 offset1:168
	v_pack_b32_f16 v0, v49, v48
	ds_write2_b32 v3, v4, v0 offset0:198 offset1:250
	s_and_saveexec_b64 s[4:5], s[0:1]
	s_cbranch_execz .LBB0_9
; %bb.8:
	v_mul_f16_sdwa v0, v37, v63 dst_sel:DWORD dst_unused:UNUSED_PAD src0_sel:WORD_1 src1_sel:DWORD
	v_mul_f16_sdwa v1, v36, v24 dst_sel:DWORD dst_unused:UNUSED_PAD src0_sel:WORD_1 src1_sel:DWORD
	;; [unrolled: 1-line block ×6, first 2 shown]
	v_fma_f16 v0, v37, v61, v0
	v_fma_f16 v1, v36, v27, -v1
	v_fma_f16 v2, v38, v62, -v2
	;; [unrolled: 1-line block ×3, first 2 shown]
	v_fma_f16 v10, v36, v24, v10
	v_fma_f16 v11, v38, v60, v11
	v_sub_f16_e32 v0, v25, v0
	v_sub_f16_e32 v2, v1, v2
	;; [unrolled: 1-line block ×4, first 2 shown]
	v_add_f16_e32 v4, v0, v2
	v_sub_f16_e32 v12, v9, v11
	v_fma_f16 v8, v0, 2.0, -v4
	v_fma_f16 v13, v9, 2.0, -v12
	;; [unrolled: 1-line block ×6, first 2 shown]
	v_sub_f16_e32 v10, v0, v10
	v_sub_f16_e32 v1, v9, v1
	v_fma_f16 v0, v0, 2.0, -v10
	v_fma_f16 v2, v9, 2.0, -v1
	v_pack_b32_f16 v0, v0, v2
	ds_write_b32 v82, v0 offset:1248
	v_pack_b32_f16 v0, v8, v13
	ds_write_b32 v82, v0 offset:2600
	;; [unrolled: 2-line block ×4, first 2 shown]
.LBB0_9:
	s_or_b64 exec, exec, s[4:5]
	s_waitcnt lgkmcnt(0)
	; wave barrier
	s_waitcnt lgkmcnt(0)
	ds_read2_b32 v[9:10], v82 offset1:52
	s_mov_b32 s4, 0x7ab2bedd
	s_mov_b32 s5, 0x3f483c97
	v_mad_u64_u32 v[11:12], s[0:1], s10, v57, 0
	s_waitcnt lgkmcnt(0)
	v_lshrrev_b32_e32 v4, 16, v9
	v_mul_f16_sdwa v0, v110, v4 dst_sel:DWORD dst_unused:UNUSED_PAD src0_sel:WORD_1 src1_sel:DWORD
	v_fma_f16 v0, v110, v9, v0
	v_cvt_f32_f16_e32 v0, v0
	s_movk_i32 s6, 0x1ff
	v_mov_b32_e32 v2, v12
	v_mad_u64_u32 v[12:13], s[0:1], s11, v57, v[2:3]
	v_cvt_f64_f32_e32 v[0:1], v0
	s_movk_i32 s7, 0xffe
	s_movk_i32 s10, 0x40f
	s_mov_b32 s11, 0x8000
	v_mul_f64 v[0:1], v[0:1], s[4:5]
	v_lshlrev_b64 v[11:12], 2, v[11:12]
	v_mov_b32_e32 v19, s3
	s_mul_i32 s3, s8, 0xa90
	s_mul_i32 s13, s8, 0xfffff640
	v_and_or_b32 v0, v1, s6, v0
	v_cmp_ne_u32_e32 vcc, 0, v0
	v_lshrrev_b32_e32 v2, 8, v1
	v_bfe_u32 v8, v1, 20, 11
	v_cndmask_b32_e64 v0, 0, 1, vcc
	v_sub_u32_e32 v13, 0x3f1, v8
	v_and_or_b32 v0, v2, s7, v0
	v_or_b32_e32 v2, 0x1000, v0
	v_med3_i32 v13, v13, 0, 13
	v_lshrrev_b32_e32 v14, v13, v2
	v_lshlrev_b32_e32 v13, v13, v14
	v_cmp_ne_u32_e32 vcc, v13, v2
	v_cndmask_b32_e64 v2, 0, 1, vcc
	v_add_u32_e32 v13, 0xfffffc10, v8
	v_or_b32_e32 v2, v14, v2
	v_lshl_or_b32 v8, v13, 12, v0
	v_cmp_gt_i32_e32 vcc, 1, v13
	v_cndmask_b32_e32 v2, v8, v2, vcc
	v_and_b32_e32 v8, 7, v2
	v_cmp_lt_i32_e32 vcc, 5, v8
	v_cmp_eq_u32_e64 s[0:1], 3, v8
	v_mul_f16_sdwa v8, v110, v9 dst_sel:DWORD dst_unused:UNUSED_PAD src0_sel:WORD_1 src1_sel:DWORD
	v_fma_f16 v4, v110, v4, -v8
	v_cvt_f32_f16_e32 v4, v4
	v_lshrrev_b32_e32 v2, 2, v2
	s_or_b64 vcc, s[0:1], vcc
	v_addc_co_u32_e32 v14, vcc, 0, v2, vcc
	v_cvt_f64_f32_e32 v[8:9], v4
	v_mov_b32_e32 v2, 0x7c00
	v_cmp_gt_i32_e32 vcc, 31, v13
	v_cndmask_b32_e32 v4, v2, v14, vcc
	v_mul_f64 v[8:9], v[8:9], s[4:5]
	v_cmp_ne_u32_e32 vcc, 0, v0
	v_cndmask_b32_e64 v0, 0, 1, vcc
	v_lshl_or_b32 v0, v0, 9, v2
	v_cmp_eq_u32_e32 vcc, s10, v13
	v_cndmask_b32_e32 v0, v4, v0, vcc
	v_lshrrev_b32_e32 v1, 16, v1
	v_and_or_b32 v15, v1, s11, v0
	v_and_or_b32 v0, v9, s6, v8
	v_cmp_ne_u32_e32 vcc, 0, v0
	v_cndmask_b32_e64 v0, 0, 1, vcc
	v_lshrrev_b32_e32 v1, 8, v9
	v_bfe_u32 v4, v9, 20, 11
	v_and_or_b32 v0, v1, s7, v0
	v_sub_u32_e32 v8, 0x3f1, v4
	v_or_b32_e32 v1, 0x1000, v0
	v_med3_i32 v8, v8, 0, 13
	v_lshrrev_b32_e32 v13, v8, v1
	v_lshlrev_b32_e32 v8, v8, v13
	v_cmp_ne_u32_e32 vcc, v8, v1
	v_cndmask_b32_e64 v1, 0, 1, vcc
	v_add_u32_e32 v4, 0xfffffc10, v4
	v_or_b32_e32 v1, v13, v1
	v_lshl_or_b32 v8, v4, 12, v0
	v_cmp_gt_i32_e32 vcc, 1, v4
	v_cndmask_b32_e32 v1, v8, v1, vcc
	v_and_b32_e32 v8, 7, v1
	v_cmp_lt_i32_e32 vcc, 5, v8
	v_cmp_eq_u32_e64 s[0:1], 3, v8
	v_lshrrev_b32_e32 v1, 2, v1
	s_or_b64 vcc, s[0:1], vcc
	v_addc_co_u32_e32 v1, vcc, 0, v1, vcc
	v_cmp_gt_i32_e32 vcc, 31, v4
	v_cndmask_b32_e32 v1, v2, v1, vcc
	v_cmp_ne_u32_e32 vcc, 0, v0
	v_cndmask_b32_e64 v0, 0, 1, vcc
	v_lshl_or_b32 v0, v0, 9, v2
	v_cmp_eq_u32_e32 vcc, s10, v4
	v_add_u32_e32 v4, 0x800, v82
	v_cndmask_b32_e32 v8, v1, v0, vcc
	v_mad_u64_u32 v[13:14], s[0:1], s8, v108, 0
	ds_read2_b32 v[0:1], v4 offset0:112 offset1:164
	v_lshrrev_b32_e32 v9, 16, v9
	v_and_or_b32 v16, v9, s11, v8
	v_mov_b32_e32 v8, v14
	v_mad_u64_u32 v[8:9], s[0:1], s9, v108, v[8:9]
	s_waitcnt lgkmcnt(0)
	v_lshrrev_b32_e32 v17, 16, v1
	v_mul_f16_sdwa v9, v109, v17 dst_sel:DWORD dst_unused:UNUSED_PAD src0_sel:WORD_1 src1_sel:DWORD
	v_fma_f16 v9, v109, v1, v9
	v_cvt_f32_f16_e32 v9, v9
	v_mov_b32_e32 v14, v8
	v_and_b32_e32 v15, 0xffff, v15
	v_lshl_or_b32 v18, v16, 16, v15
	v_cvt_f64_f32_e32 v[8:9], v9
	v_mul_f16_sdwa v1, v109, v1 dst_sel:DWORD dst_unused:UNUSED_PAD src0_sel:WORD_1 src1_sel:DWORD
	v_fma_f16 v1, v109, v17, -v1
	v_cvt_f32_f16_e32 v1, v1
	v_mul_f64 v[15:16], v[8:9], s[4:5]
	v_add_co_u32_e32 v8, vcc, s2, v11
	v_addc_co_u32_e32 v9, vcc, v19, v12, vcc
	v_lshlrev_b64 v[11:12], 2, v[13:14]
	s_mul_hi_u32 s2, s8, 0xa90
	v_add_co_u32_e32 v11, vcc, v8, v11
	v_addc_co_u32_e32 v12, vcc, v9, v12, vcc
	v_and_or_b32 v13, v16, s6, v15
	v_cmp_ne_u32_e32 vcc, 0, v13
	v_cndmask_b32_e64 v13, 0, 1, vcc
	v_lshrrev_b32_e32 v14, 8, v16
	v_and_or_b32 v15, v14, s7, v13
	v_bfe_u32 v14, v16, 20, 11
	global_store_dword v[11:12], v18, off
	v_sub_u32_e32 v18, 0x3f1, v14
	v_or_b32_e32 v13, 0x1000, v15
	v_med3_i32 v18, v18, 0, 13
	v_lshrrev_b32_e32 v19, v18, v13
	v_lshlrev_b32_e32 v18, v18, v19
	v_cmp_ne_u32_e32 vcc, v18, v13
	v_cndmask_b32_e64 v13, 0, 1, vcc
	v_add_u32_e32 v18, 0xfffffc10, v14
	v_or_b32_e32 v13, v19, v13
	v_lshl_or_b32 v14, v18, 12, v15
	v_cmp_gt_i32_e32 vcc, 1, v18
	v_cndmask_b32_e32 v13, v14, v13, vcc
	v_and_b32_e32 v14, 7, v13
	v_cmp_lt_i32_e32 vcc, 5, v14
	v_cmp_eq_u32_e64 s[0:1], 3, v14
	v_lshrrev_b32_e32 v17, 2, v13
	v_cvt_f64_f32_e32 v[13:14], v1
	s_or_b64 vcc, s[0:1], vcc
	v_addc_co_u32_e32 v1, vcc, 0, v17, vcc
	v_mul_f64 v[13:14], v[13:14], s[4:5]
	v_cmp_gt_i32_e32 vcc, 31, v18
	v_cndmask_b32_e32 v1, v2, v1, vcc
	v_cmp_ne_u32_e32 vcc, 0, v15
	v_cndmask_b32_e64 v15, 0, 1, vcc
	v_lshl_or_b32 v15, v15, 9, v2
	v_cmp_eq_u32_e32 vcc, s10, v18
	v_cndmask_b32_e32 v1, v1, v15, vcc
	v_and_or_b32 v13, v14, s6, v13
	v_lshrrev_b32_e32 v15, 16, v16
	v_cmp_ne_u32_e32 vcc, 0, v13
	v_and_or_b32 v1, v15, s11, v1
	v_cndmask_b32_e64 v13, 0, 1, vcc
	v_lshrrev_b32_e32 v15, 8, v14
	v_bfe_u32 v16, v14, 20, 11
	v_and_or_b32 v13, v15, s7, v13
	v_sub_u32_e32 v17, 0x3f1, v16
	v_or_b32_e32 v15, 0x1000, v13
	v_med3_i32 v17, v17, 0, 13
	v_lshrrev_b32_e32 v18, v17, v15
	v_lshlrev_b32_e32 v17, v17, v18
	v_cmp_ne_u32_e32 vcc, v17, v15
	v_cndmask_b32_e64 v15, 0, 1, vcc
	v_add_u32_e32 v16, 0xfffffc10, v16
	v_or_b32_e32 v15, v18, v15
	v_lshl_or_b32 v17, v16, 12, v13
	v_cmp_gt_i32_e32 vcc, 1, v16
	v_cndmask_b32_e32 v15, v17, v15, vcc
	v_and_b32_e32 v17, 7, v15
	v_cmp_lt_i32_e32 vcc, 5, v17
	v_cmp_eq_u32_e64 s[0:1], 3, v17
	v_lshrrev_b32_e32 v15, 2, v15
	s_or_b64 vcc, s[0:1], vcc
	v_addc_co_u32_e32 v15, vcc, 0, v15, vcc
	v_cmp_gt_i32_e32 vcc, 31, v16
	v_cndmask_b32_e32 v15, v2, v15, vcc
	v_cmp_ne_u32_e32 vcc, 0, v13
	v_cndmask_b32_e64 v13, 0, 1, vcc
	v_lshl_or_b32 v13, v13, 9, v2
	v_cmp_eq_u32_e32 vcc, s10, v16
	v_cndmask_b32_e32 v13, v15, v13, vcc
	v_lshrrev_b32_e32 v15, 16, v10
	v_mul_f16_sdwa v16, v107, v15 dst_sel:DWORD dst_unused:UNUSED_PAD src0_sel:WORD_1 src1_sel:DWORD
	v_fma_f16 v16, v107, v10, v16
	v_cvt_f32_f16_e32 v16, v16
	v_lshrrev_b32_e32 v14, 16, v14
	v_and_or_b32 v13, v14, s11, v13
	v_and_b32_e32 v1, 0xffff, v1
	v_lshl_or_b32 v1, v13, 16, v1
	v_cvt_f64_f32_e32 v[13:14], v16
	s_mul_i32 s0, s9, 0xa90
	s_add_i32 s2, s2, s0
	v_mov_b32_e32 v16, s2
	v_mul_f64 v[13:14], v[13:14], s[4:5]
	v_add_co_u32_e32 v11, vcc, s3, v11
	v_addc_co_u32_e32 v12, vcc, v12, v16, vcc
	global_store_dword v[11:12], v1, off
	v_mul_f16_sdwa v10, v107, v10 dst_sel:DWORD dst_unused:UNUSED_PAD src0_sel:WORD_1 src1_sel:DWORD
	v_fma_f16 v10, v107, v15, -v10
	v_and_or_b32 v1, v14, s6, v13
	v_cmp_ne_u32_e32 vcc, 0, v1
	v_cndmask_b32_e64 v1, 0, 1, vcc
	v_lshrrev_b32_e32 v13, 8, v14
	v_bfe_u32 v16, v14, 20, 11
	v_and_or_b32 v1, v13, s7, v1
	v_sub_u32_e32 v17, 0x3f1, v16
	v_or_b32_e32 v13, 0x1000, v1
	v_med3_i32 v17, v17, 0, 13
	v_lshrrev_b32_e32 v18, v17, v13
	v_lshlrev_b32_e32 v17, v17, v18
	v_cmp_ne_u32_e32 vcc, v17, v13
	v_cndmask_b32_e64 v13, 0, 1, vcc
	v_add_u32_e32 v17, 0xfffffc10, v16
	v_cvt_f32_f16_e32 v10, v10
	v_or_b32_e32 v13, v18, v13
	v_lshl_or_b32 v16, v17, 12, v1
	v_cmp_gt_i32_e32 vcc, 1, v17
	v_cndmask_b32_e32 v13, v16, v13, vcc
	v_and_b32_e32 v16, 7, v13
	v_cmp_lt_i32_e32 vcc, 5, v16
	v_cmp_eq_u32_e64 s[0:1], 3, v16
	v_cvt_f64_f32_e32 v[15:16], v10
	v_lshrrev_b32_e32 v13, 2, v13
	s_or_b64 vcc, s[0:1], vcc
	v_addc_co_u32_e32 v10, vcc, 0, v13, vcc
	v_mul_f64 v[15:16], v[15:16], s[4:5]
	v_cmp_gt_i32_e32 vcc, 31, v17
	v_cndmask_b32_e32 v10, v2, v10, vcc
	v_cmp_ne_u32_e32 vcc, 0, v1
	v_cndmask_b32_e64 v1, 0, 1, vcc
	v_lshl_or_b32 v1, v1, 9, v2
	v_cmp_eq_u32_e32 vcc, s10, v17
	v_cndmask_b32_e32 v1, v10, v1, vcc
	v_lshrrev_b32_e32 v10, 16, v14
	v_and_or_b32 v1, v10, s11, v1
	v_and_or_b32 v10, v16, s6, v15
	v_cmp_ne_u32_e32 vcc, 0, v10
	v_cndmask_b32_e64 v10, 0, 1, vcc
	v_lshrrev_b32_e32 v13, 8, v16
	v_bfe_u32 v14, v16, 20, 11
	v_and_or_b32 v10, v13, s7, v10
	v_sub_u32_e32 v15, 0x3f1, v14
	v_or_b32_e32 v13, 0x1000, v10
	v_med3_i32 v15, v15, 0, 13
	v_lshrrev_b32_e32 v17, v15, v13
	v_lshlrev_b32_e32 v15, v15, v17
	v_cmp_ne_u32_e32 vcc, v15, v13
	v_cndmask_b32_e64 v13, 0, 1, vcc
	v_add_u32_e32 v15, 0xfffffc10, v14
	v_or_b32_e32 v13, v17, v13
	v_lshl_or_b32 v14, v15, 12, v10
	v_cmp_gt_i32_e32 vcc, 1, v15
	v_cndmask_b32_e32 v13, v14, v13, vcc
	v_and_b32_e32 v14, 7, v13
	v_cmp_lt_i32_e32 vcc, 5, v14
	v_cmp_eq_u32_e64 s[0:1], 3, v14
	v_lshrrev_b32_e32 v13, 2, v13
	s_or_b64 vcc, s[0:1], vcc
	v_addc_co_u32_e32 v13, vcc, 0, v13, vcc
	v_cmp_gt_i32_e32 vcc, 31, v15
	v_cndmask_b32_e32 v17, v2, v13, vcc
	v_add_u32_e32 v13, 0xa00, v82
	ds_read2_b32 v[13:14], v13 offset0:88 offset1:140
	v_cmp_ne_u32_e32 vcc, 0, v10
	v_cndmask_b32_e64 v10, 0, 1, vcc
	v_lshl_or_b32 v10, v10, 9, v2
	v_cmp_eq_u32_e32 vcc, s10, v15
	v_cndmask_b32_e32 v10, v17, v10, vcc
	v_lshrrev_b32_e32 v15, 16, v16
	s_waitcnt lgkmcnt(0)
	v_lshrrev_b32_e32 v17, 16, v13
	v_and_or_b32 v10, v15, s11, v10
	v_mul_f16_sdwa v15, v106, v17 dst_sel:DWORD dst_unused:UNUSED_PAD src0_sel:WORD_1 src1_sel:DWORD
	v_fma_f16 v15, v106, v13, v15
	v_cvt_f32_f16_e32 v15, v15
	s_mul_hi_u32 s1, s8, 0xfffff640
	s_mul_i32 s0, s9, 0xfffff640
	s_sub_i32 s12, s1, s8
	v_cvt_f64_f32_e32 v[15:16], v15
	v_and_b32_e32 v1, 0xffff, v1
	s_add_i32 s12, s12, s0
	v_lshl_or_b32 v1, v10, 16, v1
	v_mul_f64 v[15:16], v[15:16], s[4:5]
	v_mov_b32_e32 v18, s12
	v_add_co_u32_e32 v10, vcc, s13, v11
	v_addc_co_u32_e32 v11, vcc, v12, v18, vcc
	global_store_dword v[10:11], v1, off
	v_mul_f16_sdwa v13, v106, v13 dst_sel:DWORD dst_unused:UNUSED_PAD src0_sel:WORD_1 src1_sel:DWORD
	v_and_or_b32 v1, v16, s6, v15
	v_cmp_ne_u32_e32 vcc, 0, v1
	v_cndmask_b32_e64 v1, 0, 1, vcc
	v_lshrrev_b32_e32 v12, 8, v16
	v_bfe_u32 v15, v16, 20, 11
	v_and_or_b32 v1, v12, s7, v1
	v_sub_u32_e32 v18, 0x3f1, v15
	v_or_b32_e32 v12, 0x1000, v1
	v_med3_i32 v18, v18, 0, 13
	v_lshrrev_b32_e32 v19, v18, v12
	v_lshlrev_b32_e32 v18, v18, v19
	v_fma_f16 v13, v106, v17, -v13
	v_cmp_ne_u32_e32 vcc, v18, v12
	v_cvt_f32_f16_e32 v13, v13
	v_cndmask_b32_e64 v12, 0, 1, vcc
	v_add_u32_e32 v15, 0xfffffc10, v15
	v_or_b32_e32 v12, v19, v12
	v_lshl_or_b32 v18, v15, 12, v1
	v_cmp_gt_i32_e32 vcc, 1, v15
	v_cndmask_b32_e32 v12, v18, v12, vcc
	v_and_b32_e32 v18, 7, v12
	v_lshrrev_b32_e32 v17, 2, v12
	v_cvt_f64_f32_e32 v[12:13], v13
	v_cmp_lt_i32_e32 vcc, 5, v18
	v_cmp_eq_u32_e64 s[0:1], 3, v18
	s_or_b64 vcc, s[0:1], vcc
	v_mul_f64 v[12:13], v[12:13], s[4:5]
	v_addc_co_u32_e32 v17, vcc, 0, v17, vcc
	v_cmp_gt_i32_e32 vcc, 31, v15
	v_cndmask_b32_e32 v17, v2, v17, vcc
	v_cmp_ne_u32_e32 vcc, 0, v1
	v_cndmask_b32_e64 v1, 0, 1, vcc
	v_lshl_or_b32 v1, v1, 9, v2
	v_cmp_eq_u32_e32 vcc, s10, v15
	v_and_or_b32 v12, v13, s6, v12
	v_cndmask_b32_e32 v1, v17, v1, vcc
	v_lshrrev_b32_e32 v15, 16, v16
	v_cmp_ne_u32_e32 vcc, 0, v12
	v_and_or_b32 v1, v15, s11, v1
	v_cndmask_b32_e64 v12, 0, 1, vcc
	v_lshrrev_b32_e32 v15, 8, v13
	v_bfe_u32 v16, v13, 20, 11
	v_and_or_b32 v12, v15, s7, v12
	v_sub_u32_e32 v17, 0x3f1, v16
	v_or_b32_e32 v15, 0x1000, v12
	v_med3_i32 v17, v17, 0, 13
	v_lshrrev_b32_e32 v18, v17, v15
	v_lshlrev_b32_e32 v17, v17, v18
	v_cmp_ne_u32_e32 vcc, v17, v15
	v_cndmask_b32_e64 v15, 0, 1, vcc
	v_add_u32_e32 v17, 0xfffffc10, v16
	v_or_b32_e32 v15, v18, v15
	v_lshl_or_b32 v16, v17, 12, v12
	v_cmp_gt_i32_e32 vcc, 1, v17
	v_cndmask_b32_e32 v15, v16, v15, vcc
	v_and_b32_e32 v16, 7, v15
	v_cmp_lt_i32_e32 vcc, 5, v16
	v_cmp_eq_u32_e64 s[0:1], 3, v16
	v_lshrrev_b32_e32 v15, 2, v15
	s_or_b64 vcc, s[0:1], vcc
	v_addc_co_u32_e32 v18, vcc, 0, v15, vcc
	ds_read2_b32 v[15:16], v82 offset0:104 offset1:156
	v_cmp_gt_i32_e32 vcc, 31, v17
	v_cndmask_b32_e32 v18, v2, v18, vcc
	v_cmp_ne_u32_e32 vcc, 0, v12
	v_cndmask_b32_e64 v12, 0, 1, vcc
	s_waitcnt lgkmcnt(0)
	v_lshrrev_b32_e32 v19, 16, v15
	v_mul_f16_sdwa v20, v105, v19 dst_sel:DWORD dst_unused:UNUSED_PAD src0_sel:WORD_1 src1_sel:DWORD
	v_fma_f16 v20, v105, v15, v20
	v_cvt_f32_f16_e32 v20, v20
	v_lshl_or_b32 v12, v12, 9, v2
	v_cmp_eq_u32_e32 vcc, s10, v17
	v_cndmask_b32_e32 v12, v18, v12, vcc
	v_cvt_f64_f32_e32 v[17:18], v20
	v_lshrrev_b32_e32 v13, 16, v13
	v_and_or_b32 v20, v13, s11, v12
	v_and_b32_e32 v1, 0xffff, v1
	v_mul_f64 v[12:13], v[17:18], s[4:5]
	v_mov_b32_e32 v17, s2
	v_add_co_u32_e32 v10, vcc, s3, v10
	v_lshl_or_b32 v1, v20, 16, v1
	v_addc_co_u32_e32 v11, vcc, v11, v17, vcc
	global_store_dword v[10:11], v1, off
	v_and_or_b32 v1, v13, s6, v12
	v_cmp_ne_u32_e32 vcc, 0, v1
	v_cndmask_b32_e64 v1, 0, 1, vcc
	v_lshrrev_b32_e32 v12, 8, v13
	v_bfe_u32 v17, v13, 20, 11
	v_and_or_b32 v1, v12, s7, v1
	v_sub_u32_e32 v18, 0x3f1, v17
	v_or_b32_e32 v12, 0x1000, v1
	v_med3_i32 v18, v18, 0, 13
	v_lshrrev_b32_e32 v20, v18, v12
	v_lshlrev_b32_e32 v18, v18, v20
	v_cmp_ne_u32_e32 vcc, v18, v12
	v_mul_f16_sdwa v15, v105, v15 dst_sel:DWORD dst_unused:UNUSED_PAD src0_sel:WORD_1 src1_sel:DWORD
	v_cndmask_b32_e64 v12, 0, 1, vcc
	v_fma_f16 v15, v105, v19, -v15
	v_or_b32_e32 v12, v20, v12
	v_add_u32_e32 v20, 0xfffffc10, v17
	v_cvt_f32_f16_e32 v15, v15
	v_lshl_or_b32 v17, v20, 12, v1
	v_cmp_gt_i32_e32 vcc, 1, v20
	v_cndmask_b32_e32 v12, v17, v12, vcc
	v_and_b32_e32 v17, 7, v12
	v_cmp_lt_i32_e32 vcc, 5, v17
	v_cmp_eq_u32_e64 s[0:1], 3, v17
	v_cvt_f64_f32_e32 v[17:18], v15
	v_lshrrev_b32_e32 v12, 2, v12
	s_or_b64 vcc, s[0:1], vcc
	v_addc_co_u32_e32 v12, vcc, 0, v12, vcc
	v_mul_f64 v[17:18], v[17:18], s[4:5]
	v_cmp_gt_i32_e32 vcc, 31, v20
	v_cndmask_b32_e32 v12, v2, v12, vcc
	v_cmp_ne_u32_e32 vcc, 0, v1
	v_cndmask_b32_e64 v1, 0, 1, vcc
	v_lshl_or_b32 v1, v1, 9, v2
	v_cmp_eq_u32_e32 vcc, s10, v20
	v_cndmask_b32_e32 v1, v12, v1, vcc
	v_lshrrev_b32_e32 v12, 16, v13
	v_and_or_b32 v1, v12, s11, v1
	v_and_or_b32 v12, v18, s6, v17
	v_cmp_ne_u32_e32 vcc, 0, v12
	v_cndmask_b32_e64 v12, 0, 1, vcc
	v_lshrrev_b32_e32 v13, 8, v18
	v_bfe_u32 v15, v18, 20, 11
	v_and_or_b32 v12, v13, s7, v12
	v_sub_u32_e32 v17, 0x3f1, v15
	v_or_b32_e32 v13, 0x1000, v12
	v_med3_i32 v17, v17, 0, 13
	v_lshrrev_b32_e32 v19, v17, v13
	v_lshlrev_b32_e32 v17, v17, v19
	v_cmp_ne_u32_e32 vcc, v17, v13
	v_cndmask_b32_e64 v13, 0, 1, vcc
	v_add_u32_e32 v15, 0xfffffc10, v15
	v_or_b32_e32 v13, v19, v13
	v_lshl_or_b32 v17, v15, 12, v12
	v_cmp_gt_i32_e32 vcc, 1, v15
	v_cndmask_b32_e32 v13, v17, v13, vcc
	v_and_b32_e32 v17, 7, v13
	v_cmp_lt_i32_e32 vcc, 5, v17
	v_cmp_eq_u32_e64 s[0:1], 3, v17
	v_lshrrev_b32_e32 v17, 16, v14
	v_lshrrev_b32_e32 v13, 2, v13
	s_or_b64 vcc, s[0:1], vcc
	v_mul_f16_sdwa v19, v104, v17 dst_sel:DWORD dst_unused:UNUSED_PAD src0_sel:WORD_1 src1_sel:DWORD
	v_addc_co_u32_e32 v13, vcc, 0, v13, vcc
	v_fma_f16 v19, v104, v14, v19
	v_cmp_gt_i32_e32 vcc, 31, v15
	v_cvt_f32_f16_e32 v19, v19
	v_cndmask_b32_e32 v13, v2, v13, vcc
	v_cmp_ne_u32_e32 vcc, 0, v12
	v_cndmask_b32_e64 v12, 0, 1, vcc
	v_lshl_or_b32 v12, v12, 9, v2
	v_cmp_eq_u32_e32 vcc, s10, v15
	v_cndmask_b32_e32 v15, v13, v12, vcc
	v_cvt_f64_f32_e32 v[12:13], v19
	v_lshrrev_b32_e32 v18, 16, v18
	v_and_or_b32 v15, v18, s11, v15
	v_and_b32_e32 v1, 0xffff, v1
	v_mul_f64 v[12:13], v[12:13], s[4:5]
	v_lshl_or_b32 v1, v15, 16, v1
	v_mov_b32_e32 v15, s12
	v_add_co_u32_e32 v10, vcc, s13, v10
	v_addc_co_u32_e32 v11, vcc, v11, v15, vcc
	global_store_dword v[10:11], v1, off
	v_and_or_b32 v1, v13, s6, v12
	v_cmp_ne_u32_e32 vcc, 0, v1
	v_cndmask_b32_e64 v1, 0, 1, vcc
	v_lshrrev_b32_e32 v12, 8, v13
	v_bfe_u32 v15, v13, 20, 11
	v_and_or_b32 v1, v12, s7, v1
	v_sub_u32_e32 v18, 0x3f1, v15
	v_or_b32_e32 v12, 0x1000, v1
	v_med3_i32 v18, v18, 0, 13
	v_lshrrev_b32_e32 v19, v18, v12
	v_lshlrev_b32_e32 v18, v18, v19
	v_mul_f16_sdwa v14, v104, v14 dst_sel:DWORD dst_unused:UNUSED_PAD src0_sel:WORD_1 src1_sel:DWORD
	v_cmp_ne_u32_e32 vcc, v18, v12
	v_fma_f16 v14, v104, v17, -v14
	v_cndmask_b32_e64 v12, 0, 1, vcc
	v_add_u32_e32 v18, 0xfffffc10, v15
	v_cvt_f32_f16_e32 v14, v14
	v_or_b32_e32 v12, v19, v12
	v_lshl_or_b32 v15, v18, 12, v1
	v_cmp_gt_i32_e32 vcc, 1, v18
	v_cndmask_b32_e32 v12, v15, v12, vcc
	v_and_b32_e32 v15, 7, v12
	v_cmp_lt_i32_e32 vcc, 5, v15
	v_cmp_eq_u32_e64 s[0:1], 3, v15
	v_cvt_f64_f32_e32 v[14:15], v14
	v_lshrrev_b32_e32 v12, 2, v12
	s_or_b64 vcc, s[0:1], vcc
	v_addc_co_u32_e32 v12, vcc, 0, v12, vcc
	v_mul_f64 v[14:15], v[14:15], s[4:5]
	v_cmp_gt_i32_e32 vcc, 31, v18
	v_cndmask_b32_e32 v12, v2, v12, vcc
	v_cmp_ne_u32_e32 vcc, 0, v1
	v_cndmask_b32_e64 v1, 0, 1, vcc
	v_lshl_or_b32 v1, v1, 9, v2
	v_cmp_eq_u32_e32 vcc, s10, v18
	v_cndmask_b32_e32 v1, v12, v1, vcc
	v_lshrrev_b32_e32 v12, 16, v13
	v_and_or_b32 v1, v12, s11, v1
	v_and_or_b32 v12, v15, s6, v14
	v_cmp_ne_u32_e32 vcc, 0, v12
	v_cndmask_b32_e64 v12, 0, 1, vcc
	v_lshrrev_b32_e32 v13, 8, v15
	v_bfe_u32 v14, v15, 20, 11
	v_and_or_b32 v12, v13, s7, v12
	v_sub_u32_e32 v17, 0x3f1, v14
	v_or_b32_e32 v13, 0x1000, v12
	v_med3_i32 v17, v17, 0, 13
	v_lshrrev_b32_e32 v18, v17, v13
	v_lshlrev_b32_e32 v17, v17, v18
	v_cmp_ne_u32_e32 vcc, v17, v13
	v_cndmask_b32_e64 v13, 0, 1, vcc
	v_add_u32_e32 v14, 0xfffffc10, v14
	v_or_b32_e32 v13, v18, v13
	v_lshl_or_b32 v17, v14, 12, v12
	v_cmp_gt_i32_e32 vcc, 1, v14
	v_cndmask_b32_e32 v13, v17, v13, vcc
	v_and_b32_e32 v17, 7, v13
	v_cmp_lt_i32_e32 vcc, 5, v17
	v_cmp_eq_u32_e64 s[0:1], 3, v17
	v_lshrrev_b32_e32 v17, 16, v16
	v_lshrrev_b32_e32 v13, 2, v13
	s_or_b64 vcc, s[0:1], vcc
	v_mul_f16_sdwa v18, v102, v17 dst_sel:DWORD dst_unused:UNUSED_PAD src0_sel:WORD_1 src1_sel:DWORD
	v_addc_co_u32_e32 v13, vcc, 0, v13, vcc
	v_fma_f16 v18, v102, v16, v18
	v_cmp_gt_i32_e32 vcc, 31, v14
	v_cvt_f32_f16_e32 v18, v18
	v_cndmask_b32_e32 v13, v2, v13, vcc
	v_cmp_ne_u32_e32 vcc, 0, v12
	v_cndmask_b32_e64 v12, 0, 1, vcc
	v_lshl_or_b32 v12, v12, 9, v2
	v_cmp_eq_u32_e32 vcc, s10, v14
	v_cndmask_b32_e32 v14, v13, v12, vcc
	v_cvt_f64_f32_e32 v[12:13], v18
	v_lshrrev_b32_e32 v15, 16, v15
	v_and_or_b32 v14, v15, s11, v14
	v_and_b32_e32 v1, 0xffff, v1
	v_mul_f64 v[12:13], v[12:13], s[4:5]
	v_lshl_or_b32 v1, v14, 16, v1
	v_mov_b32_e32 v14, s2
	v_add_co_u32_e32 v10, vcc, s3, v10
	v_addc_co_u32_e32 v11, vcc, v11, v14, vcc
	global_store_dword v[10:11], v1, off
	v_and_or_b32 v1, v13, s6, v12
	v_cmp_ne_u32_e32 vcc, 0, v1
	v_cndmask_b32_e64 v1, 0, 1, vcc
	v_lshrrev_b32_e32 v12, 8, v13
	v_bfe_u32 v14, v13, 20, 11
	v_and_or_b32 v1, v12, s7, v1
	v_sub_u32_e32 v15, 0x3f1, v14
	v_or_b32_e32 v12, 0x1000, v1
	v_med3_i32 v15, v15, 0, 13
	v_lshrrev_b32_e32 v18, v15, v12
	v_lshlrev_b32_e32 v15, v15, v18
	v_cmp_ne_u32_e32 vcc, v15, v12
	v_mul_f16_sdwa v15, v102, v16 dst_sel:DWORD dst_unused:UNUSED_PAD src0_sel:WORD_1 src1_sel:DWORD
	v_cndmask_b32_e64 v12, 0, 1, vcc
	v_fma_f16 v15, v102, v17, -v15
	v_or_b32_e32 v12, v18, v12
	v_add_u32_e32 v18, 0xfffffc10, v14
	v_cvt_f32_f16_e32 v15, v15
	v_lshl_or_b32 v14, v18, 12, v1
	v_cmp_gt_i32_e32 vcc, 1, v18
	v_cndmask_b32_e32 v12, v14, v12, vcc
	v_and_b32_e32 v14, 7, v12
	v_cmp_lt_i32_e32 vcc, 5, v14
	v_cmp_eq_u32_e64 s[0:1], 3, v14
	v_cvt_f64_f32_e32 v[14:15], v15
	v_lshrrev_b32_e32 v12, 2, v12
	s_or_b64 vcc, s[0:1], vcc
	v_addc_co_u32_e32 v12, vcc, 0, v12, vcc
	v_mul_f64 v[14:15], v[14:15], s[4:5]
	v_cmp_gt_i32_e32 vcc, 31, v18
	v_cndmask_b32_e32 v12, v2, v12, vcc
	v_cmp_ne_u32_e32 vcc, 0, v1
	v_cndmask_b32_e64 v1, 0, 1, vcc
	v_lshl_or_b32 v1, v1, 9, v2
	v_cmp_eq_u32_e32 vcc, s10, v18
	v_cndmask_b32_e32 v1, v12, v1, vcc
	v_lshrrev_b32_e32 v12, 16, v13
	v_and_or_b32 v1, v12, s11, v1
	v_and_or_b32 v12, v15, s6, v14
	v_cmp_ne_u32_e32 vcc, 0, v12
	v_cndmask_b32_e64 v12, 0, 1, vcc
	v_lshrrev_b32_e32 v13, 8, v15
	v_and_or_b32 v14, v13, s7, v12
	v_bfe_u32 v13, v15, 20, 11
	v_sub_u32_e32 v16, 0x3f1, v13
	v_or_b32_e32 v12, 0x1000, v14
	v_med3_i32 v16, v16, 0, 13
	v_lshrrev_b32_e32 v17, v16, v12
	v_lshlrev_b32_e32 v16, v16, v17
	v_cmp_ne_u32_e32 vcc, v16, v12
	v_cndmask_b32_e64 v12, 0, 1, vcc
	v_add_u32_e32 v16, 0xfffffc10, v13
	v_or_b32_e32 v12, v17, v12
	v_lshl_or_b32 v13, v16, 12, v14
	v_cmp_gt_i32_e32 vcc, 1, v16
	v_cndmask_b32_e32 v12, v13, v12, vcc
	v_and_b32_e32 v13, 7, v12
	v_cmp_lt_i32_e32 vcc, 5, v13
	v_cmp_eq_u32_e64 s[0:1], 3, v13
	v_lshrrev_b32_e32 v12, 2, v12
	s_or_b64 vcc, s[0:1], vcc
	v_addc_co_u32_e32 v17, vcc, 0, v12, vcc
	ds_read2_b32 v[12:13], v6 offset0:64 offset1:116
	v_cmp_gt_i32_e32 vcc, 31, v16
	v_cndmask_b32_e32 v17, v2, v17, vcc
	v_cmp_ne_u32_e32 vcc, 0, v14
	v_cndmask_b32_e64 v14, 0, 1, vcc
	s_waitcnt lgkmcnt(0)
	v_lshrrev_b32_e32 v18, 16, v12
	v_mul_f16_sdwa v19, v103, v18 dst_sel:DWORD dst_unused:UNUSED_PAD src0_sel:WORD_1 src1_sel:DWORD
	v_fma_f16 v19, v103, v12, v19
	v_cvt_f32_f16_e32 v19, v19
	v_lshl_or_b32 v14, v14, 9, v2
	v_cmp_eq_u32_e32 vcc, s10, v16
	v_cndmask_b32_e32 v14, v17, v14, vcc
	v_cvt_f64_f32_e32 v[16:17], v19
	v_lshrrev_b32_e32 v15, 16, v15
	v_and_or_b32 v19, v15, s11, v14
	v_and_b32_e32 v1, 0xffff, v1
	v_mul_f64 v[14:15], v[16:17], s[4:5]
	v_mov_b32_e32 v16, s12
	v_add_co_u32_e32 v10, vcc, s13, v10
	v_lshl_or_b32 v1, v19, 16, v1
	v_addc_co_u32_e32 v11, vcc, v11, v16, vcc
	global_store_dword v[10:11], v1, off
	v_and_or_b32 v1, v15, s6, v14
	v_cmp_ne_u32_e32 vcc, 0, v1
	v_cndmask_b32_e64 v1, 0, 1, vcc
	v_lshrrev_b32_e32 v14, 8, v15
	v_bfe_u32 v16, v15, 20, 11
	v_and_or_b32 v1, v14, s7, v1
	v_sub_u32_e32 v17, 0x3f1, v16
	v_or_b32_e32 v14, 0x1000, v1
	v_med3_i32 v17, v17, 0, 13
	v_lshrrev_b32_e32 v19, v17, v14
	v_lshlrev_b32_e32 v17, v17, v19
	v_cmp_ne_u32_e32 vcc, v17, v14
	v_mul_f16_sdwa v12, v103, v12 dst_sel:DWORD dst_unused:UNUSED_PAD src0_sel:WORD_1 src1_sel:DWORD
	v_cndmask_b32_e64 v14, 0, 1, vcc
	v_fma_f16 v12, v103, v18, -v12
	v_or_b32_e32 v14, v19, v14
	v_add_u32_e32 v19, 0xfffffc10, v16
	v_cvt_f32_f16_e32 v12, v12
	v_lshl_or_b32 v16, v19, 12, v1
	v_cmp_gt_i32_e32 vcc, 1, v19
	v_cndmask_b32_e32 v14, v16, v14, vcc
	v_and_b32_e32 v16, 7, v14
	v_cmp_lt_i32_e32 vcc, 5, v16
	v_cmp_eq_u32_e64 s[0:1], 3, v16
	v_cvt_f64_f32_e32 v[16:17], v12
	v_lshrrev_b32_e32 v14, 2, v14
	s_or_b64 vcc, s[0:1], vcc
	v_addc_co_u32_e32 v12, vcc, 0, v14, vcc
	v_mul_f64 v[16:17], v[16:17], s[4:5]
	v_cmp_gt_i32_e32 vcc, 31, v19
	v_cndmask_b32_e32 v12, v2, v12, vcc
	v_cmp_ne_u32_e32 vcc, 0, v1
	v_cndmask_b32_e64 v1, 0, 1, vcc
	v_lshl_or_b32 v1, v1, 9, v2
	v_cmp_eq_u32_e32 vcc, s10, v19
	v_cndmask_b32_e32 v1, v12, v1, vcc
	v_lshrrev_b32_e32 v12, 16, v15
	v_and_or_b32 v12, v12, s11, v1
	v_and_or_b32 v1, v17, s6, v16
	v_cmp_ne_u32_e32 vcc, 0, v1
	v_cndmask_b32_e64 v1, 0, 1, vcc
	v_lshrrev_b32_e32 v14, 8, v17
	v_bfe_u32 v15, v17, 20, 11
	v_and_or_b32 v1, v14, s7, v1
	v_sub_u32_e32 v16, 0x3f1, v15
	v_or_b32_e32 v14, 0x1000, v1
	v_med3_i32 v16, v16, 0, 13
	v_lshrrev_b32_e32 v18, v16, v14
	v_lshlrev_b32_e32 v16, v16, v18
	v_cmp_ne_u32_e32 vcc, v16, v14
	v_cndmask_b32_e64 v14, 0, 1, vcc
	v_add_u32_e32 v16, 0xfffffc10, v15
	v_or_b32_e32 v14, v18, v14
	v_lshl_or_b32 v15, v16, 12, v1
	v_cmp_gt_i32_e32 vcc, 1, v16
	v_cndmask_b32_e32 v14, v15, v14, vcc
	v_and_b32_e32 v15, 7, v14
	v_cmp_lt_i32_e32 vcc, 5, v15
	v_cmp_eq_u32_e64 s[0:1], 3, v15
	v_lshrrev_b32_e32 v14, 2, v14
	s_or_b64 vcc, s[0:1], vcc
	v_addc_co_u32_e32 v14, vcc, 0, v14, vcc
	ds_read2_b32 v[18:19], v7 offset0:80 offset1:132
	v_cmp_gt_i32_e32 vcc, 31, v16
	v_cndmask_b32_e32 v20, v2, v14, vcc
	v_cmp_ne_u32_e32 vcc, 0, v1
	v_mad_u64_u32 v[14:15], s[0:1], s8, v100, 0
	v_cndmask_b32_e64 v1, 0, 1, vcc
	v_lshl_or_b32 v1, v1, 9, v2
	v_cmp_eq_u32_e32 vcc, s10, v16
	v_cndmask_b32_e32 v7, v20, v1, vcc
	s_waitcnt lgkmcnt(0)
	v_lshrrev_b32_e32 v20, 16, v18
	v_mov_b32_e32 v1, v15
	v_mul_f16_sdwa v15, v99, v20 dst_sel:DWORD dst_unused:UNUSED_PAD src0_sel:WORD_1 src1_sel:DWORD
	v_fma_f16 v15, v99, v18, v15
	v_cvt_f32_f16_e32 v21, v15
	v_lshrrev_b32_e32 v17, 16, v17
	v_mad_u64_u32 v[15:16], s[0:1], s9, v100, v[1:2]
	v_and_or_b32 v1, v17, s11, v7
	v_cvt_f64_f32_e32 v[16:17], v21
	v_lshlrev_b64 v[14:15], 2, v[14:15]
	v_and_b32_e32 v7, 0xffff, v12
	v_lshl_or_b32 v1, v1, 16, v7
	v_mul_f64 v[16:17], v[16:17], s[4:5]
	v_add_co_u32_e32 v7, vcc, v8, v14
	v_addc_co_u32_e32 v8, vcc, v9, v15, vcc
	global_store_dword v[7:8], v1, off
	v_and_or_b32 v1, v17, s6, v16
	v_cmp_ne_u32_e32 vcc, 0, v1
	v_cndmask_b32_e64 v1, 0, 1, vcc
	v_lshrrev_b32_e32 v7, 8, v17
	v_bfe_u32 v8, v17, 20, 11
	v_and_or_b32 v1, v7, s7, v1
	v_sub_u32_e32 v9, 0x3f1, v8
	v_or_b32_e32 v7, 0x1000, v1
	v_med3_i32 v9, v9, 0, 13
	v_lshrrev_b32_e32 v12, v9, v7
	v_lshlrev_b32_e32 v9, v9, v12
	v_cmp_ne_u32_e32 vcc, v9, v7
	v_cndmask_b32_e64 v7, 0, 1, vcc
	v_or_b32_e32 v7, v12, v7
	v_mul_f16_sdwa v12, v99, v18 dst_sel:DWORD dst_unused:UNUSED_PAD src0_sel:WORD_1 src1_sel:DWORD
	v_fma_f16 v12, v99, v20, -v12
	v_add_u32_e32 v9, 0xfffffc10, v8
	v_cvt_f32_f16_e32 v12, v12
	v_lshl_or_b32 v8, v9, 12, v1
	v_cmp_gt_i32_e32 vcc, 1, v9
	v_cndmask_b32_e32 v7, v8, v7, vcc
	v_and_b32_e32 v8, 7, v7
	v_cmp_lt_i32_e32 vcc, 5, v8
	v_cmp_eq_u32_e64 s[0:1], 3, v8
	v_lshrrev_b32_e32 v14, 2, v7
	v_cvt_f64_f32_e32 v[7:8], v12
	s_or_b64 vcc, s[0:1], vcc
	v_addc_co_u32_e32 v12, vcc, 0, v14, vcc
	v_mul_f64 v[7:8], v[7:8], s[4:5]
	v_cmp_gt_i32_e32 vcc, 31, v9
	v_cndmask_b32_e32 v12, v2, v12, vcc
	v_cmp_ne_u32_e32 vcc, 0, v1
	v_cndmask_b32_e64 v1, 0, 1, vcc
	v_lshl_or_b32 v1, v1, 9, v2
	v_cmp_eq_u32_e32 vcc, s10, v9
	v_cndmask_b32_e32 v1, v12, v1, vcc
	v_and_or_b32 v7, v8, s6, v7
	v_lshrrev_b32_e32 v9, 16, v17
	v_cmp_ne_u32_e32 vcc, 0, v7
	v_and_or_b32 v1, v9, s11, v1
	v_cndmask_b32_e64 v7, 0, 1, vcc
	v_lshrrev_b32_e32 v9, 8, v8
	v_bfe_u32 v12, v8, 20, 11
	v_and_or_b32 v7, v9, s7, v7
	v_sub_u32_e32 v14, 0x3f1, v12
	v_or_b32_e32 v9, 0x1000, v7
	v_med3_i32 v14, v14, 0, 13
	v_lshrrev_b32_e32 v15, v14, v9
	v_lshlrev_b32_e32 v14, v14, v15
	v_cmp_ne_u32_e32 vcc, v14, v9
	v_cndmask_b32_e64 v9, 0, 1, vcc
	v_add_u32_e32 v12, 0xfffffc10, v12
	v_or_b32_e32 v9, v15, v9
	v_lshl_or_b32 v14, v12, 12, v7
	v_cmp_gt_i32_e32 vcc, 1, v12
	v_cndmask_b32_e32 v9, v14, v9, vcc
	v_and_b32_e32 v14, 7, v9
	v_lshrrev_b32_e32 v16, 16, v13
	v_cmp_lt_i32_e32 vcc, 5, v14
	v_cmp_eq_u32_e64 s[0:1], 3, v14
	v_mul_f16_sdwa v14, v101, v16 dst_sel:DWORD dst_unused:UNUSED_PAD src0_sel:WORD_1 src1_sel:DWORD
	v_fma_f16 v14, v101, v13, v14
	v_cvt_f32_f16_e32 v14, v14
	v_lshrrev_b32_e32 v9, 2, v9
	s_or_b64 vcc, s[0:1], vcc
	v_addc_co_u32_e32 v9, vcc, 0, v9, vcc
	v_cmp_gt_i32_e32 vcc, 31, v12
	v_cndmask_b32_e32 v9, v2, v9, vcc
	v_cmp_ne_u32_e32 vcc, 0, v7
	v_cvt_f64_f32_e32 v[14:15], v14
	v_cndmask_b32_e64 v7, 0, 1, vcc
	v_lshl_or_b32 v7, v7, 9, v2
	v_cmp_eq_u32_e32 vcc, s10, v12
	v_cndmask_b32_e32 v7, v9, v7, vcc
	v_lshrrev_b32_e32 v8, 16, v8
	v_and_or_b32 v12, v8, s11, v7
	v_mul_f64 v[7:8], v[14:15], s[4:5]
	v_mov_b32_e32 v9, 0xd0
	v_mad_u64_u32 v[9:10], s[0:1], s8, v9, v[10:11]
	v_and_b32_e32 v1, 0xffff, v1
	s_mul_i32 s0, s9, 0xd0
	v_lshl_or_b32 v1, v12, 16, v1
	v_add_u32_e32 v10, s0, v10
	global_store_dword v[9:10], v1, off
	v_and_or_b32 v1, v8, s6, v7
	v_cmp_ne_u32_e32 vcc, 0, v1
	v_cndmask_b32_e64 v1, 0, 1, vcc
	v_lshrrev_b32_e32 v7, 8, v8
	v_bfe_u32 v11, v8, 20, 11
	v_and_or_b32 v1, v7, s7, v1
	v_sub_u32_e32 v12, 0x3f1, v11
	v_or_b32_e32 v7, 0x1000, v1
	v_med3_i32 v12, v12, 0, 13
	v_lshrrev_b32_e32 v14, v12, v7
	v_lshlrev_b32_e32 v12, v12, v14
	v_cmp_ne_u32_e32 vcc, v12, v7
	v_mul_f16_sdwa v12, v101, v13 dst_sel:DWORD dst_unused:UNUSED_PAD src0_sel:WORD_1 src1_sel:DWORD
	v_cndmask_b32_e64 v7, 0, 1, vcc
	v_fma_f16 v12, v101, v16, -v12
	v_or_b32_e32 v7, v14, v7
	v_add_u32_e32 v14, 0xfffffc10, v11
	v_cvt_f32_f16_e32 v12, v12
	v_lshl_or_b32 v11, v14, 12, v1
	v_cmp_gt_i32_e32 vcc, 1, v14
	v_cndmask_b32_e32 v7, v11, v7, vcc
	v_and_b32_e32 v11, 7, v7
	v_cmp_lt_i32_e32 vcc, 5, v11
	v_cmp_eq_u32_e64 s[0:1], 3, v11
	v_cvt_f64_f32_e32 v[11:12], v12
	v_lshrrev_b32_e32 v7, 2, v7
	s_or_b64 vcc, s[0:1], vcc
	v_addc_co_u32_e32 v7, vcc, 0, v7, vcc
	v_mul_f64 v[11:12], v[11:12], s[4:5]
	v_cmp_gt_i32_e32 vcc, 31, v14
	v_cndmask_b32_e32 v7, v2, v7, vcc
	v_cmp_ne_u32_e32 vcc, 0, v1
	v_cndmask_b32_e64 v1, 0, 1, vcc
	v_lshl_or_b32 v1, v1, 9, v2
	v_cmp_eq_u32_e32 vcc, s10, v14
	v_cndmask_b32_e32 v1, v7, v1, vcc
	v_lshrrev_b32_e32 v7, 16, v8
	v_and_or_b32 v1, v7, s11, v1
	v_and_or_b32 v7, v12, s6, v11
	v_cmp_ne_u32_e32 vcc, 0, v7
	v_cndmask_b32_e64 v7, 0, 1, vcc
	v_lshrrev_b32_e32 v8, 8, v12
	v_bfe_u32 v11, v12, 20, 11
	v_and_or_b32 v7, v8, s7, v7
	v_sub_u32_e32 v13, 0x3f1, v11
	v_or_b32_e32 v8, 0x1000, v7
	v_med3_i32 v13, v13, 0, 13
	v_lshrrev_b32_e32 v14, v13, v8
	v_lshlrev_b32_e32 v13, v13, v14
	v_cmp_ne_u32_e32 vcc, v13, v8
	v_cndmask_b32_e64 v8, 0, 1, vcc
	v_add_u32_e32 v11, 0xfffffc10, v11
	v_or_b32_e32 v8, v14, v8
	v_lshl_or_b32 v13, v11, 12, v7
	v_cmp_gt_i32_e32 vcc, 1, v11
	v_cndmask_b32_e32 v8, v13, v8, vcc
	v_and_b32_e32 v13, 7, v8
	v_cmp_lt_i32_e32 vcc, 5, v13
	v_cmp_eq_u32_e64 s[0:1], 3, v13
	v_lshrrev_b32_e32 v13, 16, v19
	v_lshrrev_b32_e32 v8, 2, v8
	s_or_b64 vcc, s[0:1], vcc
	v_mul_f16_sdwa v14, v97, v13 dst_sel:DWORD dst_unused:UNUSED_PAD src0_sel:WORD_1 src1_sel:DWORD
	v_addc_co_u32_e32 v8, vcc, 0, v8, vcc
	v_fma_f16 v14, v97, v19, v14
	v_cmp_gt_i32_e32 vcc, 31, v11
	v_cvt_f32_f16_e32 v14, v14
	v_cndmask_b32_e32 v8, v2, v8, vcc
	v_cmp_ne_u32_e32 vcc, 0, v7
	v_cndmask_b32_e64 v7, 0, 1, vcc
	v_lshl_or_b32 v7, v7, 9, v2
	v_cmp_eq_u32_e32 vcc, s10, v11
	v_cndmask_b32_e32 v11, v8, v7, vcc
	v_cvt_f64_f32_e32 v[7:8], v14
	v_lshrrev_b32_e32 v12, 16, v12
	v_and_or_b32 v11, v12, s11, v11
	v_and_b32_e32 v1, 0xffff, v1
	v_mul_f64 v[7:8], v[7:8], s[4:5]
	v_lshl_or_b32 v1, v11, 16, v1
	v_mov_b32_e32 v11, s2
	v_add_co_u32_e32 v9, vcc, s3, v9
	v_addc_co_u32_e32 v10, vcc, v10, v11, vcc
	global_store_dword v[9:10], v1, off
	v_and_or_b32 v1, v8, s6, v7
	v_cmp_ne_u32_e32 vcc, 0, v1
	v_cndmask_b32_e64 v1, 0, 1, vcc
	v_lshrrev_b32_e32 v7, 8, v8
	v_bfe_u32 v11, v8, 20, 11
	v_and_or_b32 v1, v7, s7, v1
	v_sub_u32_e32 v12, 0x3f1, v11
	v_or_b32_e32 v7, 0x1000, v1
	v_med3_i32 v12, v12, 0, 13
	v_lshrrev_b32_e32 v14, v12, v7
	v_lshlrev_b32_e32 v12, v12, v14
	v_cmp_ne_u32_e32 vcc, v12, v7
	v_mul_f16_sdwa v12, v97, v19 dst_sel:DWORD dst_unused:UNUSED_PAD src0_sel:WORD_1 src1_sel:DWORD
	v_cndmask_b32_e64 v7, 0, 1, vcc
	v_fma_f16 v12, v97, v13, -v12
	v_or_b32_e32 v7, v14, v7
	v_add_u32_e32 v14, 0xfffffc10, v11
	v_cvt_f32_f16_e32 v12, v12
	v_lshl_or_b32 v11, v14, 12, v1
	v_cmp_gt_i32_e32 vcc, 1, v14
	v_cndmask_b32_e32 v7, v11, v7, vcc
	v_and_b32_e32 v11, 7, v7
	v_cmp_lt_i32_e32 vcc, 5, v11
	v_cmp_eq_u32_e64 s[0:1], 3, v11
	v_cvt_f64_f32_e32 v[11:12], v12
	v_lshrrev_b32_e32 v7, 2, v7
	s_or_b64 vcc, s[0:1], vcc
	v_addc_co_u32_e32 v7, vcc, 0, v7, vcc
	v_mul_f64 v[11:12], v[11:12], s[4:5]
	v_cmp_gt_i32_e32 vcc, 31, v14
	v_cndmask_b32_e32 v7, v2, v7, vcc
	v_cmp_ne_u32_e32 vcc, 0, v1
	v_cndmask_b32_e64 v1, 0, 1, vcc
	v_lshl_or_b32 v1, v1, 9, v2
	v_cmp_eq_u32_e32 vcc, s10, v14
	v_cndmask_b32_e32 v1, v7, v1, vcc
	v_lshrrev_b32_e32 v7, 16, v8
	v_and_or_b32 v1, v7, s11, v1
	v_and_or_b32 v7, v12, s6, v11
	v_cmp_ne_u32_e32 vcc, 0, v7
	v_cndmask_b32_e64 v7, 0, 1, vcc
	v_lshrrev_b32_e32 v8, 8, v12
	v_bfe_u32 v11, v12, 20, 11
	v_and_or_b32 v8, v8, s7, v7
	v_sub_u32_e32 v13, 0x3f1, v11
	v_or_b32_e32 v7, 0x1000, v8
	v_med3_i32 v13, v13, 0, 13
	v_lshrrev_b32_e32 v14, v13, v7
	v_lshlrev_b32_e32 v13, v13, v14
	v_cmp_ne_u32_e32 vcc, v13, v7
	v_cndmask_b32_e64 v7, 0, 1, vcc
	v_add_u32_e32 v11, 0xfffffc10, v11
	v_or_b32_e32 v7, v14, v7
	v_lshl_or_b32 v13, v11, 12, v8
	v_cmp_gt_i32_e32 vcc, 1, v11
	v_cndmask_b32_e32 v7, v13, v7, vcc
	v_and_b32_e32 v13, 7, v7
	v_cmp_lt_i32_e32 vcc, 5, v13
	v_cmp_eq_u32_e64 s[0:1], 3, v13
	v_lshrrev_b32_e32 v7, 2, v7
	s_or_b64 vcc, s[0:1], vcc
	v_addc_co_u32_e32 v13, vcc, 0, v7, vcc
	ds_read2_b32 v[6:7], v6 offset0:168 offset1:220
	v_cmp_gt_i32_e32 vcc, 31, v11
	v_cndmask_b32_e32 v13, v2, v13, vcc
	v_cmp_ne_u32_e32 vcc, 0, v8
	v_cndmask_b32_e64 v8, 0, 1, vcc
	s_waitcnt lgkmcnt(0)
	v_lshrrev_b32_e32 v15, 16, v6
	v_mul_f16_sdwa v14, v98, v15 dst_sel:DWORD dst_unused:UNUSED_PAD src0_sel:WORD_1 src1_sel:DWORD
	v_fma_f16 v14, v98, v6, v14
	v_cvt_f32_f16_e32 v14, v14
	v_lshl_or_b32 v8, v8, 9, v2
	v_cmp_eq_u32_e32 vcc, s10, v11
	v_cndmask_b32_e32 v8, v13, v8, vcc
	v_cvt_f64_f32_e32 v[13:14], v14
	v_lshrrev_b32_e32 v11, 16, v12
	v_and_or_b32 v8, v11, s11, v8
	v_and_b32_e32 v1, 0xffff, v1
	v_mul_f64 v[11:12], v[13:14], s[4:5]
	v_lshl_or_b32 v1, v8, 16, v1
	v_mov_b32_e32 v13, s12
	v_add_co_u32_e32 v8, vcc, s13, v9
	v_addc_co_u32_e32 v9, vcc, v10, v13, vcc
	global_store_dword v[8:9], v1, off
	v_and_or_b32 v1, v12, s6, v11
	v_cmp_ne_u32_e32 vcc, 0, v1
	v_cndmask_b32_e64 v1, 0, 1, vcc
	v_lshrrev_b32_e32 v10, 8, v12
	v_bfe_u32 v11, v12, 20, 11
	v_and_or_b32 v1, v10, s7, v1
	v_sub_u32_e32 v13, 0x3f1, v11
	v_or_b32_e32 v10, 0x1000, v1
	v_med3_i32 v13, v13, 0, 13
	v_lshrrev_b32_e32 v14, v13, v10
	v_lshlrev_b32_e32 v13, v13, v14
	v_mul_f16_sdwa v6, v98, v6 dst_sel:DWORD dst_unused:UNUSED_PAD src0_sel:WORD_1 src1_sel:DWORD
	v_cmp_ne_u32_e32 vcc, v13, v10
	v_fma_f16 v6, v98, v15, -v6
	v_cndmask_b32_e64 v10, 0, 1, vcc
	v_add_u32_e32 v13, 0xfffffc10, v11
	v_cvt_f32_f16_e32 v6, v6
	v_or_b32_e32 v10, v14, v10
	v_lshl_or_b32 v11, v13, 12, v1
	v_cmp_gt_i32_e32 vcc, 1, v13
	v_cndmask_b32_e32 v10, v11, v10, vcc
	v_and_b32_e32 v11, 7, v10
	v_cmp_lt_i32_e32 vcc, 5, v11
	v_cmp_eq_u32_e64 s[0:1], 3, v11
	v_lshrrev_b32_e32 v14, 2, v10
	v_cvt_f64_f32_e32 v[10:11], v6
	s_or_b64 vcc, s[0:1], vcc
	v_addc_co_u32_e32 v6, vcc, 0, v14, vcc
	v_mul_f64 v[10:11], v[10:11], s[4:5]
	v_cmp_gt_i32_e32 vcc, 31, v13
	v_cndmask_b32_e32 v6, v2, v6, vcc
	v_cmp_ne_u32_e32 vcc, 0, v1
	v_cndmask_b32_e64 v1, 0, 1, vcc
	v_lshl_or_b32 v1, v1, 9, v2
	v_cmp_eq_u32_e32 vcc, s10, v13
	v_cndmask_b32_e32 v1, v6, v1, vcc
	v_lshrrev_b32_e32 v6, 16, v12
	v_and_or_b32 v1, v6, s11, v1
	v_and_or_b32 v6, v11, s6, v10
	v_cmp_ne_u32_e32 vcc, 0, v6
	v_cndmask_b32_e64 v6, 0, 1, vcc
	v_lshrrev_b32_e32 v10, 8, v11
	v_bfe_u32 v12, v11, 20, 11
	v_and_or_b32 v6, v10, s7, v6
	v_sub_u32_e32 v13, 0x3f1, v12
	v_or_b32_e32 v10, 0x1000, v6
	v_med3_i32 v13, v13, 0, 13
	v_lshrrev_b32_e32 v14, v13, v10
	v_lshlrev_b32_e32 v13, v13, v14
	v_cmp_ne_u32_e32 vcc, v13, v10
	v_cndmask_b32_e64 v10, 0, 1, vcc
	v_or_b32_e32 v10, v14, v10
	v_add_u32_e32 v14, 0xfffffc10, v12
	v_lshl_or_b32 v12, v14, 12, v6
	v_cmp_gt_i32_e32 vcc, 1, v14
	v_cndmask_b32_e32 v10, v12, v10, vcc
	v_and_b32_e32 v12, 7, v10
	v_cmp_lt_i32_e32 vcc, 5, v12
	v_cmp_eq_u32_e64 s[0:1], 3, v12
	ds_read2_b32 v[12:13], v5 offset0:56 offset1:108
	v_lshrrev_b32_e32 v10, 2, v10
	s_or_b64 vcc, s[0:1], vcc
	v_addc_co_u32_e32 v10, vcc, 0, v10, vcc
	s_waitcnt lgkmcnt(0)
	v_lshrrev_b32_e32 v16, 16, v12
	v_mul_f16_sdwa v15, v94, v16 dst_sel:DWORD dst_unused:UNUSED_PAD src0_sel:WORD_1 src1_sel:DWORD
	v_fma_f16 v15, v94, v12, v15
	v_cvt_f32_f16_e32 v15, v15
	v_cmp_gt_i32_e32 vcc, 31, v14
	v_cndmask_b32_e32 v10, v2, v10, vcc
	v_cmp_ne_u32_e32 vcc, 0, v6
	v_cndmask_b32_e64 v6, 0, 1, vcc
	v_cmp_eq_u32_e32 vcc, s10, v14
	v_cvt_f64_f32_e32 v[14:15], v15
	v_lshl_or_b32 v6, v6, 9, v2
	v_cndmask_b32_e32 v6, v10, v6, vcc
	v_lshrrev_b32_e32 v10, 16, v11
	v_and_or_b32 v6, v10, s11, v6
	v_mul_f64 v[10:11], v[14:15], s[4:5]
	v_and_b32_e32 v1, 0xffff, v1
	v_lshl_or_b32 v1, v6, 16, v1
	v_mov_b32_e32 v6, s2
	v_add_co_u32_e32 v8, vcc, s3, v8
	v_addc_co_u32_e32 v9, vcc, v9, v6, vcc
	global_store_dword v[8:9], v1, off
	v_and_or_b32 v1, v11, s6, v10
	v_cmp_ne_u32_e32 vcc, 0, v1
	v_cndmask_b32_e64 v1, 0, 1, vcc
	v_lshrrev_b32_e32 v6, 8, v11
	v_bfe_u32 v10, v11, 20, 11
	v_and_or_b32 v1, v6, s7, v1
	v_sub_u32_e32 v14, 0x3f1, v10
	v_or_b32_e32 v6, 0x1000, v1
	v_med3_i32 v14, v14, 0, 13
	v_lshrrev_b32_e32 v15, v14, v6
	v_lshlrev_b32_e32 v14, v14, v15
	v_mul_f16_sdwa v12, v94, v12 dst_sel:DWORD dst_unused:UNUSED_PAD src0_sel:WORD_1 src1_sel:DWORD
	v_cmp_ne_u32_e32 vcc, v14, v6
	v_fma_f16 v12, v94, v16, -v12
	v_cndmask_b32_e64 v6, 0, 1, vcc
	v_add_u32_e32 v10, 0xfffffc10, v10
	v_cvt_f32_f16_e32 v12, v12
	v_or_b32_e32 v6, v15, v6
	v_lshl_or_b32 v14, v10, 12, v1
	v_cmp_gt_i32_e32 vcc, 1, v10
	v_cndmask_b32_e32 v6, v14, v6, vcc
	v_and_b32_e32 v14, 7, v6
	v_cmp_lt_i32_e32 vcc, 5, v14
	v_cmp_eq_u32_e64 s[0:1], 3, v14
	v_cvt_f64_f32_e32 v[14:15], v12
	v_lshrrev_b32_e32 v6, 2, v6
	s_or_b64 vcc, s[0:1], vcc
	v_addc_co_u32_e32 v6, vcc, 0, v6, vcc
	v_mul_f64 v[14:15], v[14:15], s[4:5]
	v_cmp_gt_i32_e32 vcc, 31, v10
	v_cndmask_b32_e32 v6, v2, v6, vcc
	v_cmp_ne_u32_e32 vcc, 0, v1
	v_cndmask_b32_e64 v1, 0, 1, vcc
	v_lshl_or_b32 v1, v1, 9, v2
	v_cmp_eq_u32_e32 vcc, s10, v10
	v_cndmask_b32_e32 v1, v6, v1, vcc
	v_lshrrev_b32_e32 v6, 16, v11
	v_and_or_b32 v1, v6, s11, v1
	v_and_or_b32 v6, v15, s6, v14
	v_cmp_ne_u32_e32 vcc, 0, v6
	v_cndmask_b32_e64 v6, 0, 1, vcc
	v_lshrrev_b32_e32 v10, 8, v15
	v_bfe_u32 v11, v15, 20, 11
	v_and_or_b32 v6, v10, s7, v6
	v_sub_u32_e32 v12, 0x3f1, v11
	v_or_b32_e32 v10, 0x1000, v6
	v_med3_i32 v12, v12, 0, 13
	v_lshrrev_b32_e32 v14, v12, v10
	v_lshlrev_b32_e32 v12, v12, v14
	v_cmp_ne_u32_e32 vcc, v12, v10
	v_cndmask_b32_e64 v10, 0, 1, vcc
	v_add_u32_e32 v11, 0xfffffc10, v11
	v_or_b32_e32 v10, v14, v10
	v_lshl_or_b32 v12, v11, 12, v6
	v_cmp_gt_i32_e32 vcc, 1, v11
	v_cndmask_b32_e32 v10, v12, v10, vcc
	v_and_b32_e32 v12, 7, v10
	v_cmp_lt_i32_e32 vcc, 5, v12
	v_cmp_eq_u32_e64 s[0:1], 3, v12
	v_lshrrev_b32_e32 v12, 16, v7
	v_lshrrev_b32_e32 v10, 2, v10
	s_or_b64 vcc, s[0:1], vcc
	v_mul_f16_sdwa v14, v96, v12 dst_sel:DWORD dst_unused:UNUSED_PAD src0_sel:WORD_1 src1_sel:DWORD
	v_addc_co_u32_e32 v10, vcc, 0, v10, vcc
	v_fma_f16 v14, v96, v7, v14
	v_cmp_gt_i32_e32 vcc, 31, v11
	v_cvt_f32_f16_e32 v14, v14
	v_cndmask_b32_e32 v10, v2, v10, vcc
	v_cmp_ne_u32_e32 vcc, 0, v6
	v_cndmask_b32_e64 v6, 0, 1, vcc
	v_lshl_or_b32 v6, v6, 9, v2
	v_cmp_eq_u32_e32 vcc, s10, v11
	v_cndmask_b32_e32 v6, v10, v6, vcc
	v_cvt_f64_f32_e32 v[10:11], v14
	v_lshrrev_b32_e32 v14, 16, v15
	v_and_or_b32 v6, v14, s11, v6
	v_and_b32_e32 v1, 0xffff, v1
	v_mul_f64 v[10:11], v[10:11], s[4:5]
	v_lshl_or_b32 v1, v6, 16, v1
	v_mov_b32_e32 v6, s12
	v_add_co_u32_e32 v8, vcc, s13, v8
	v_addc_co_u32_e32 v9, vcc, v9, v6, vcc
	global_store_dword v[8:9], v1, off
	v_and_or_b32 v1, v11, s6, v10
	v_cmp_ne_u32_e32 vcc, 0, v1
	v_cndmask_b32_e64 v1, 0, 1, vcc
	v_lshrrev_b32_e32 v6, 8, v11
	v_bfe_u32 v10, v11, 20, 11
	v_and_or_b32 v1, v6, s7, v1
	v_sub_u32_e32 v14, 0x3f1, v10
	v_or_b32_e32 v6, 0x1000, v1
	v_med3_i32 v14, v14, 0, 13
	v_lshrrev_b32_e32 v15, v14, v6
	v_mul_f16_sdwa v7, v96, v7 dst_sel:DWORD dst_unused:UNUSED_PAD src0_sel:WORD_1 src1_sel:DWORD
	v_lshlrev_b32_e32 v14, v14, v15
	v_fma_f16 v7, v96, v12, -v7
	v_cmp_ne_u32_e32 vcc, v14, v6
	v_cvt_f32_f16_e32 v7, v7
	v_cndmask_b32_e64 v6, 0, 1, vcc
	v_add_u32_e32 v10, 0xfffffc10, v10
	v_or_b32_e32 v6, v15, v6
	v_lshl_or_b32 v14, v10, 12, v1
	v_cmp_gt_i32_e32 vcc, 1, v10
	v_cndmask_b32_e32 v6, v14, v6, vcc
	v_and_b32_e32 v14, 7, v6
	v_lshrrev_b32_e32 v12, 2, v6
	v_cvt_f64_f32_e32 v[6:7], v7
	v_cmp_lt_i32_e32 vcc, 5, v14
	v_cmp_eq_u32_e64 s[0:1], 3, v14
	s_or_b64 vcc, s[0:1], vcc
	v_mul_f64 v[6:7], v[6:7], s[4:5]
	v_addc_co_u32_e32 v12, vcc, 0, v12, vcc
	v_cmp_gt_i32_e32 vcc, 31, v10
	v_cndmask_b32_e32 v12, v2, v12, vcc
	v_cmp_ne_u32_e32 vcc, 0, v1
	v_cndmask_b32_e64 v1, 0, 1, vcc
	v_lshl_or_b32 v1, v1, 9, v2
	v_cmp_eq_u32_e32 vcc, s10, v10
	v_and_or_b32 v6, v7, s6, v6
	v_cndmask_b32_e32 v1, v12, v1, vcc
	v_lshrrev_b32_e32 v10, 16, v11
	v_cmp_ne_u32_e32 vcc, 0, v6
	v_and_or_b32 v1, v10, s11, v1
	v_cndmask_b32_e64 v6, 0, 1, vcc
	v_lshrrev_b32_e32 v10, 8, v7
	v_bfe_u32 v11, v7, 20, 11
	v_and_or_b32 v6, v10, s7, v6
	v_sub_u32_e32 v12, 0x3f1, v11
	v_or_b32_e32 v10, 0x1000, v6
	v_med3_i32 v12, v12, 0, 13
	v_lshrrev_b32_e32 v14, v12, v10
	v_lshlrev_b32_e32 v12, v12, v14
	v_cmp_ne_u32_e32 vcc, v12, v10
	v_cndmask_b32_e64 v10, 0, 1, vcc
	v_add_u32_e32 v11, 0xfffffc10, v11
	v_or_b32_e32 v10, v14, v10
	v_lshl_or_b32 v12, v11, 12, v6
	v_cmp_gt_i32_e32 vcc, 1, v11
	v_cndmask_b32_e32 v10, v12, v10, vcc
	v_and_b32_e32 v12, 7, v10
	v_cmp_lt_i32_e32 vcc, 5, v12
	v_cmp_eq_u32_e64 s[0:1], 3, v12
	v_lshrrev_b32_e32 v12, 16, v13
	v_lshrrev_b32_e32 v10, 2, v10
	s_or_b64 vcc, s[0:1], vcc
	v_mul_f16_sdwa v14, v93, v12 dst_sel:DWORD dst_unused:UNUSED_PAD src0_sel:WORD_1 src1_sel:DWORD
	v_addc_co_u32_e32 v10, vcc, 0, v10, vcc
	v_fma_f16 v14, v93, v13, v14
	v_cmp_gt_i32_e32 vcc, 31, v11
	v_cvt_f32_f16_e32 v14, v14
	v_cndmask_b32_e32 v10, v2, v10, vcc
	v_cmp_ne_u32_e32 vcc, 0, v6
	v_cndmask_b32_e64 v6, 0, 1, vcc
	v_lshl_or_b32 v6, v6, 9, v2
	v_cmp_eq_u32_e32 vcc, s10, v11
	v_cndmask_b32_e32 v6, v10, v6, vcc
	v_cvt_f64_f32_e32 v[10:11], v14
	v_lshrrev_b32_e32 v7, 16, v7
	v_and_or_b32 v14, v7, s11, v6
	v_and_b32_e32 v1, 0xffff, v1
	v_mul_f64 v[6:7], v[10:11], s[4:5]
	v_mov_b32_e32 v10, s2
	v_add_co_u32_e32 v8, vcc, s3, v8
	v_lshl_or_b32 v1, v14, 16, v1
	v_addc_co_u32_e32 v9, vcc, v9, v10, vcc
	global_store_dword v[8:9], v1, off
	v_and_or_b32 v1, v7, s6, v6
	v_cmp_ne_u32_e32 vcc, 0, v1
	v_cndmask_b32_e64 v1, 0, 1, vcc
	v_lshrrev_b32_e32 v6, 8, v7
	v_bfe_u32 v10, v7, 20, 11
	v_and_or_b32 v1, v6, s7, v1
	v_sub_u32_e32 v11, 0x3f1, v10
	v_or_b32_e32 v6, 0x1000, v1
	v_med3_i32 v11, v11, 0, 13
	v_lshrrev_b32_e32 v14, v11, v6
	v_lshlrev_b32_e32 v11, v11, v14
	v_cmp_ne_u32_e32 vcc, v11, v6
	v_mul_f16_sdwa v11, v93, v13 dst_sel:DWORD dst_unused:UNUSED_PAD src0_sel:WORD_1 src1_sel:DWORD
	v_cndmask_b32_e64 v6, 0, 1, vcc
	v_fma_f16 v11, v93, v12, -v11
	v_or_b32_e32 v6, v14, v6
	v_add_u32_e32 v14, 0xfffffc10, v10
	v_cvt_f32_f16_e32 v11, v11
	v_lshl_or_b32 v10, v14, 12, v1
	v_cmp_gt_i32_e32 vcc, 1, v14
	v_cndmask_b32_e32 v6, v10, v6, vcc
	v_and_b32_e32 v10, 7, v6
	v_cmp_lt_i32_e32 vcc, 5, v10
	v_cmp_eq_u32_e64 s[0:1], 3, v10
	v_cvt_f64_f32_e32 v[10:11], v11
	v_lshrrev_b32_e32 v6, 2, v6
	s_or_b64 vcc, s[0:1], vcc
	v_addc_co_u32_e32 v6, vcc, 0, v6, vcc
	v_mul_f64 v[10:11], v[10:11], s[4:5]
	v_cmp_gt_i32_e32 vcc, 31, v14
	v_cndmask_b32_e32 v6, v2, v6, vcc
	v_cmp_ne_u32_e32 vcc, 0, v1
	v_cndmask_b32_e64 v1, 0, 1, vcc
	v_lshl_or_b32 v1, v1, 9, v2
	v_cmp_eq_u32_e32 vcc, s10, v14
	v_cndmask_b32_e32 v1, v6, v1, vcc
	v_lshrrev_b32_e32 v6, 16, v7
	v_and_or_b32 v1, v6, s11, v1
	v_and_or_b32 v6, v11, s6, v10
	v_cmp_ne_u32_e32 vcc, 0, v6
	v_cndmask_b32_e64 v6, 0, 1, vcc
	v_lshrrev_b32_e32 v7, 8, v11
	v_and_or_b32 v10, v7, s7, v6
	v_bfe_u32 v7, v11, 20, 11
	v_sub_u32_e32 v12, 0x3f1, v7
	v_or_b32_e32 v6, 0x1000, v10
	v_med3_i32 v12, v12, 0, 13
	v_lshrrev_b32_e32 v13, v12, v6
	v_lshlrev_b32_e32 v12, v12, v13
	v_cmp_ne_u32_e32 vcc, v12, v6
	v_cndmask_b32_e64 v6, 0, 1, vcc
	v_add_u32_e32 v12, 0xfffffc10, v7
	v_or_b32_e32 v6, v13, v6
	v_lshl_or_b32 v7, v12, 12, v10
	v_cmp_gt_i32_e32 vcc, 1, v12
	v_cndmask_b32_e32 v6, v7, v6, vcc
	v_and_b32_e32 v7, 7, v6
	v_cmp_lt_i32_e32 vcc, 5, v7
	v_cmp_eq_u32_e64 s[0:1], 3, v7
	v_lshrrev_b32_e32 v6, 2, v6
	s_or_b64 vcc, s[0:1], vcc
	v_addc_co_u32_e32 v13, vcc, 0, v6, vcc
	ds_read2_b32 v[6:7], v3 offset0:16 offset1:68
	v_cmp_gt_i32_e32 vcc, 31, v12
	v_cndmask_b32_e32 v13, v2, v13, vcc
	v_cmp_ne_u32_e32 vcc, 0, v10
	v_cndmask_b32_e64 v10, 0, 1, vcc
	s_waitcnt lgkmcnt(0)
	v_lshrrev_b32_e32 v14, 16, v6
	v_mul_f16_sdwa v15, v95, v14 dst_sel:DWORD dst_unused:UNUSED_PAD src0_sel:WORD_1 src1_sel:DWORD
	v_fma_f16 v15, v95, v6, v15
	v_cvt_f32_f16_e32 v15, v15
	v_lshl_or_b32 v10, v10, 9, v2
	v_cmp_eq_u32_e32 vcc, s10, v12
	v_cndmask_b32_e32 v10, v13, v10, vcc
	v_cvt_f64_f32_e32 v[12:13], v15
	v_lshrrev_b32_e32 v11, 16, v11
	v_and_or_b32 v15, v11, s11, v10
	v_and_b32_e32 v1, 0xffff, v1
	v_mul_f64 v[10:11], v[12:13], s[4:5]
	v_mov_b32_e32 v12, s12
	v_add_co_u32_e32 v8, vcc, s13, v8
	v_lshl_or_b32 v1, v15, 16, v1
	v_addc_co_u32_e32 v9, vcc, v9, v12, vcc
	global_store_dword v[8:9], v1, off
	v_and_or_b32 v1, v11, s6, v10
	v_cmp_ne_u32_e32 vcc, 0, v1
	v_cndmask_b32_e64 v1, 0, 1, vcc
	v_lshrrev_b32_e32 v10, 8, v11
	v_bfe_u32 v12, v11, 20, 11
	v_and_or_b32 v1, v10, s7, v1
	v_sub_u32_e32 v13, 0x3f1, v12
	v_or_b32_e32 v10, 0x1000, v1
	v_med3_i32 v13, v13, 0, 13
	v_lshrrev_b32_e32 v15, v13, v10
	v_lshlrev_b32_e32 v13, v13, v15
	v_cmp_ne_u32_e32 vcc, v13, v10
	v_mul_f16_sdwa v6, v95, v6 dst_sel:DWORD dst_unused:UNUSED_PAD src0_sel:WORD_1 src1_sel:DWORD
	v_cndmask_b32_e64 v10, 0, 1, vcc
	v_fma_f16 v6, v95, v14, -v6
	v_or_b32_e32 v10, v15, v10
	v_add_u32_e32 v15, 0xfffffc10, v12
	v_cvt_f32_f16_e32 v6, v6
	v_lshl_or_b32 v12, v15, 12, v1
	v_cmp_gt_i32_e32 vcc, 1, v15
	v_cndmask_b32_e32 v10, v12, v10, vcc
	v_and_b32_e32 v12, 7, v10
	v_cmp_lt_i32_e32 vcc, 5, v12
	v_cmp_eq_u32_e64 s[0:1], 3, v12
	v_cvt_f64_f32_e32 v[12:13], v6
	v_lshrrev_b32_e32 v10, 2, v10
	s_or_b64 vcc, s[0:1], vcc
	v_addc_co_u32_e32 v6, vcc, 0, v10, vcc
	v_mul_f64 v[12:13], v[12:13], s[4:5]
	v_cmp_gt_i32_e32 vcc, 31, v15
	v_cndmask_b32_e32 v6, v2, v6, vcc
	v_cmp_ne_u32_e32 vcc, 0, v1
	v_cndmask_b32_e64 v1, 0, 1, vcc
	v_lshl_or_b32 v1, v1, 9, v2
	v_cmp_eq_u32_e32 vcc, s10, v15
	v_cndmask_b32_e32 v1, v6, v1, vcc
	v_lshrrev_b32_e32 v6, 16, v11
	v_and_or_b32 v1, v6, s11, v1
	v_and_or_b32 v6, v13, s6, v12
	v_cmp_ne_u32_e32 vcc, 0, v6
	v_cndmask_b32_e64 v6, 0, 1, vcc
	v_lshrrev_b32_e32 v10, 8, v13
	v_bfe_u32 v11, v13, 20, 11
	v_and_or_b32 v10, v10, s7, v6
	v_sub_u32_e32 v12, 0x3f1, v11
	v_or_b32_e32 v6, 0x1000, v10
	v_med3_i32 v12, v12, 0, 13
	v_lshrrev_b32_e32 v14, v12, v6
	v_lshlrev_b32_e32 v12, v12, v14
	v_cmp_ne_u32_e32 vcc, v12, v6
	v_cndmask_b32_e64 v6, 0, 1, vcc
	v_add_u32_e32 v11, 0xfffffc10, v11
	v_or_b32_e32 v6, v14, v6
	v_lshl_or_b32 v12, v11, 12, v10
	v_cmp_gt_i32_e32 vcc, 1, v11
	v_cndmask_b32_e32 v6, v12, v6, vcc
	v_and_b32_e32 v12, 7, v6
	v_cmp_lt_i32_e32 vcc, 5, v12
	v_cmp_eq_u32_e64 s[0:1], 3, v12
	v_lshrrev_b32_e32 v6, 2, v6
	s_or_b64 vcc, s[0:1], vcc
	v_addc_co_u32_e32 v12, vcc, 0, v6, vcc
	ds_read2_b32 v[5:6], v5 offset0:160 offset1:212
	v_cmp_gt_i32_e32 vcc, 31, v11
	v_cndmask_b32_e32 v12, v2, v12, vcc
	v_cmp_ne_u32_e32 vcc, 0, v10
	v_cndmask_b32_e64 v10, 0, 1, vcc
	s_waitcnt lgkmcnt(0)
	v_lshrrev_b32_e32 v14, 16, v5
	v_mul_f16_sdwa v15, v91, v14 dst_sel:DWORD dst_unused:UNUSED_PAD src0_sel:WORD_1 src1_sel:DWORD
	v_fma_f16 v15, v91, v5, v15
	v_cvt_f32_f16_e32 v15, v15
	v_lshl_or_b32 v10, v10, 9, v2
	v_cmp_eq_u32_e32 vcc, s10, v11
	v_cndmask_b32_e32 v12, v12, v10, vcc
	v_cvt_f64_f32_e32 v[10:11], v15
	v_lshrrev_b32_e32 v13, 16, v13
	v_and_or_b32 v12, v13, s11, v12
	v_and_b32_e32 v1, 0xffff, v1
	v_mul_f64 v[10:11], v[10:11], s[4:5]
	v_lshl_or_b32 v1, v12, 16, v1
	v_mov_b32_e32 v12, s2
	v_add_co_u32_e32 v8, vcc, s3, v8
	v_addc_co_u32_e32 v9, vcc, v9, v12, vcc
	global_store_dword v[8:9], v1, off
	v_and_or_b32 v1, v11, s6, v10
	v_cmp_ne_u32_e32 vcc, 0, v1
	v_cndmask_b32_e64 v1, 0, 1, vcc
	v_lshrrev_b32_e32 v10, 8, v11
	v_bfe_u32 v12, v11, 20, 11
	v_and_or_b32 v1, v10, s7, v1
	v_sub_u32_e32 v13, 0x3f1, v12
	v_or_b32_e32 v10, 0x1000, v1
	v_med3_i32 v13, v13, 0, 13
	v_lshrrev_b32_e32 v15, v13, v10
	v_lshlrev_b32_e32 v13, v13, v15
	v_cmp_ne_u32_e32 vcc, v13, v10
	v_mul_f16_sdwa v5, v91, v5 dst_sel:DWORD dst_unused:UNUSED_PAD src0_sel:WORD_1 src1_sel:DWORD
	v_cndmask_b32_e64 v10, 0, 1, vcc
	v_fma_f16 v5, v91, v14, -v5
	v_or_b32_e32 v10, v15, v10
	v_add_u32_e32 v15, 0xfffffc10, v12
	v_cvt_f32_f16_e32 v5, v5
	v_lshl_or_b32 v12, v15, 12, v1
	v_cmp_gt_i32_e32 vcc, 1, v15
	v_cndmask_b32_e32 v10, v12, v10, vcc
	v_and_b32_e32 v12, 7, v10
	v_cmp_lt_i32_e32 vcc, 5, v12
	v_cmp_eq_u32_e64 s[0:1], 3, v12
	v_cvt_f64_f32_e32 v[12:13], v5
	v_lshrrev_b32_e32 v10, 2, v10
	s_or_b64 vcc, s[0:1], vcc
	v_addc_co_u32_e32 v5, vcc, 0, v10, vcc
	v_mul_f64 v[12:13], v[12:13], s[4:5]
	v_cmp_gt_i32_e32 vcc, 31, v15
	v_cndmask_b32_e32 v5, v2, v5, vcc
	v_cmp_ne_u32_e32 vcc, 0, v1
	v_cndmask_b32_e64 v1, 0, 1, vcc
	v_lshl_or_b32 v1, v1, 9, v2
	v_cmp_eq_u32_e32 vcc, s10, v15
	v_cndmask_b32_e32 v1, v5, v1, vcc
	v_lshrrev_b32_e32 v5, 16, v11
	v_and_or_b32 v1, v5, s11, v1
	v_and_or_b32 v5, v13, s6, v12
	v_cmp_ne_u32_e32 vcc, 0, v5
	v_cndmask_b32_e64 v5, 0, 1, vcc
	v_lshrrev_b32_e32 v10, 8, v13
	v_bfe_u32 v11, v13, 20, 11
	v_and_or_b32 v5, v10, s7, v5
	v_sub_u32_e32 v12, 0x3f1, v11
	v_or_b32_e32 v10, 0x1000, v5
	v_med3_i32 v12, v12, 0, 13
	v_lshrrev_b32_e32 v14, v12, v10
	v_lshlrev_b32_e32 v12, v12, v14
	v_cmp_ne_u32_e32 vcc, v12, v10
	v_cndmask_b32_e64 v10, 0, 1, vcc
	v_add_u32_e32 v11, 0xfffffc10, v11
	v_or_b32_e32 v10, v14, v10
	v_lshl_or_b32 v12, v11, 12, v5
	v_cmp_gt_i32_e32 vcc, 1, v11
	v_cndmask_b32_e32 v10, v12, v10, vcc
	v_and_b32_e32 v12, 7, v10
	v_cmp_lt_i32_e32 vcc, 5, v12
	v_cmp_eq_u32_e64 s[0:1], 3, v12
	v_lshrrev_b32_e32 v12, 16, v7
	v_lshrrev_b32_e32 v10, 2, v10
	s_or_b64 vcc, s[0:1], vcc
	v_mul_f16_sdwa v14, v92, v12 dst_sel:DWORD dst_unused:UNUSED_PAD src0_sel:WORD_1 src1_sel:DWORD
	v_addc_co_u32_e32 v10, vcc, 0, v10, vcc
	v_fma_f16 v14, v92, v7, v14
	v_cmp_gt_i32_e32 vcc, 31, v11
	v_cvt_f32_f16_e32 v14, v14
	v_cndmask_b32_e32 v10, v2, v10, vcc
	v_cmp_ne_u32_e32 vcc, 0, v5
	v_cndmask_b32_e64 v5, 0, 1, vcc
	v_lshl_or_b32 v5, v5, 9, v2
	v_cmp_eq_u32_e32 vcc, s10, v11
	v_cndmask_b32_e32 v5, v10, v5, vcc
	v_cvt_f64_f32_e32 v[10:11], v14
	v_lshrrev_b32_e32 v13, 16, v13
	v_and_or_b32 v5, v13, s11, v5
	v_and_b32_e32 v1, 0xffff, v1
	v_mul_f64 v[10:11], v[10:11], s[4:5]
	v_lshl_or_b32 v1, v5, 16, v1
	v_mov_b32_e32 v5, s12
	v_add_co_u32_e32 v8, vcc, s13, v8
	v_addc_co_u32_e32 v9, vcc, v9, v5, vcc
	global_store_dword v[8:9], v1, off
	v_and_or_b32 v1, v11, s6, v10
	v_cmp_ne_u32_e32 vcc, 0, v1
	v_cndmask_b32_e64 v1, 0, 1, vcc
	v_lshrrev_b32_e32 v5, 8, v11
	v_bfe_u32 v10, v11, 20, 11
	v_and_or_b32 v1, v5, s7, v1
	v_sub_u32_e32 v13, 0x3f1, v10
	v_or_b32_e32 v5, 0x1000, v1
	v_med3_i32 v13, v13, 0, 13
	v_lshrrev_b32_e32 v14, v13, v5
	v_lshlrev_b32_e32 v13, v13, v14
	v_mul_f16_sdwa v7, v92, v7 dst_sel:DWORD dst_unused:UNUSED_PAD src0_sel:WORD_1 src1_sel:DWORD
	v_cmp_ne_u32_e32 vcc, v13, v5
	v_fma_f16 v7, v92, v12, -v7
	v_cndmask_b32_e64 v5, 0, 1, vcc
	v_add_u32_e32 v10, 0xfffffc10, v10
	v_cvt_f32_f16_e32 v7, v7
	v_or_b32_e32 v5, v14, v5
	v_lshl_or_b32 v13, v10, 12, v1
	v_cmp_gt_i32_e32 vcc, 1, v10
	v_cndmask_b32_e32 v5, v13, v5, vcc
	v_and_b32_e32 v13, 7, v5
	v_cmp_lt_i32_e32 vcc, 5, v13
	v_cmp_eq_u32_e64 s[0:1], 3, v13
	v_cvt_f64_f32_e32 v[12:13], v7
	v_lshrrev_b32_e32 v5, 2, v5
	s_or_b64 vcc, s[0:1], vcc
	v_addc_co_u32_e32 v5, vcc, 0, v5, vcc
	v_mul_f64 v[12:13], v[12:13], s[4:5]
	v_cmp_gt_i32_e32 vcc, 31, v10
	v_cndmask_b32_e32 v5, v2, v5, vcc
	v_cmp_ne_u32_e32 vcc, 0, v1
	v_cndmask_b32_e64 v1, 0, 1, vcc
	v_lshl_or_b32 v1, v1, 9, v2
	v_cmp_eq_u32_e32 vcc, s10, v10
	v_cndmask_b32_e32 v1, v5, v1, vcc
	v_lshrrev_b32_e32 v5, 16, v11
	v_and_or_b32 v1, v5, s11, v1
	v_and_or_b32 v5, v13, s6, v12
	v_cmp_ne_u32_e32 vcc, 0, v5
	v_cndmask_b32_e64 v5, 0, 1, vcc
	v_lshrrev_b32_e32 v7, 8, v13
	v_bfe_u32 v10, v13, 20, 11
	v_and_or_b32 v5, v7, s7, v5
	v_sub_u32_e32 v11, 0x3f1, v10
	v_or_b32_e32 v7, 0x1000, v5
	v_med3_i32 v11, v11, 0, 13
	v_lshrrev_b32_e32 v12, v11, v7
	v_lshlrev_b32_e32 v11, v11, v12
	v_cmp_ne_u32_e32 vcc, v11, v7
	v_cndmask_b32_e64 v7, 0, 1, vcc
	v_add_u32_e32 v10, 0xfffffc10, v10
	v_or_b32_e32 v7, v12, v7
	v_lshl_or_b32 v11, v10, 12, v5
	v_cmp_gt_i32_e32 vcc, 1, v10
	v_cndmask_b32_e32 v7, v11, v7, vcc
	v_and_b32_e32 v11, 7, v7
	v_lshrrev_b32_e32 v12, 16, v6
	v_cmp_lt_i32_e32 vcc, 5, v11
	v_cmp_eq_u32_e64 s[0:1], 3, v11
	v_mul_f16_sdwa v11, v89, v12 dst_sel:DWORD dst_unused:UNUSED_PAD src0_sel:WORD_1 src1_sel:DWORD
	v_fma_f16 v11, v89, v6, v11
	v_lshrrev_b32_e32 v7, 2, v7
	s_or_b64 vcc, s[0:1], vcc
	v_cvt_f32_f16_e32 v11, v11
	v_addc_co_u32_e32 v7, vcc, 0, v7, vcc
	v_cmp_gt_i32_e32 vcc, 31, v10
	v_cndmask_b32_e32 v7, v2, v7, vcc
	v_cmp_ne_u32_e32 vcc, 0, v5
	v_cndmask_b32_e64 v5, 0, 1, vcc
	v_cmp_eq_u32_e32 vcc, s10, v10
	v_cvt_f64_f32_e32 v[10:11], v11
	v_lshl_or_b32 v5, v5, 9, v2
	v_cndmask_b32_e32 v5, v7, v5, vcc
	v_lshrrev_b32_e32 v7, 16, v13
	v_mul_f64 v[10:11], v[10:11], s[4:5]
	v_and_or_b32 v5, v7, s11, v5
	v_and_b32_e32 v1, 0xffff, v1
	v_lshl_or_b32 v1, v5, 16, v1
	v_mov_b32_e32 v5, s2
	v_add_co_u32_e32 v7, vcc, s3, v8
	v_addc_co_u32_e32 v8, vcc, v9, v5, vcc
	global_store_dword v[7:8], v1, off
	v_and_or_b32 v1, v11, s6, v10
	v_cmp_ne_u32_e32 vcc, 0, v1
	v_cndmask_b32_e64 v1, 0, 1, vcc
	v_lshrrev_b32_e32 v5, 8, v11
	v_bfe_u32 v9, v11, 20, 11
	v_and_or_b32 v1, v5, s7, v1
	v_sub_u32_e32 v10, 0x3f1, v9
	v_or_b32_e32 v5, 0x1000, v1
	v_med3_i32 v10, v10, 0, 13
	v_lshrrev_b32_e32 v13, v10, v5
	v_lshlrev_b32_e32 v10, v10, v13
	v_mul_f16_sdwa v6, v89, v6 dst_sel:DWORD dst_unused:UNUSED_PAD src0_sel:WORD_1 src1_sel:DWORD
	v_cmp_ne_u32_e32 vcc, v10, v5
	v_fma_f16 v6, v89, v12, -v6
	v_cndmask_b32_e64 v5, 0, 1, vcc
	v_add_u32_e32 v9, 0xfffffc10, v9
	v_cvt_f32_f16_e32 v6, v6
	v_or_b32_e32 v5, v13, v5
	v_lshl_or_b32 v10, v9, 12, v1
	v_cmp_gt_i32_e32 vcc, 1, v9
	v_cndmask_b32_e32 v5, v10, v5, vcc
	v_and_b32_e32 v10, 7, v5
	v_cmp_lt_i32_e32 vcc, 5, v10
	v_cmp_eq_u32_e64 s[0:1], 3, v10
	v_lshrrev_b32_e32 v10, 2, v5
	v_cvt_f64_f32_e32 v[5:6], v6
	s_or_b64 vcc, s[0:1], vcc
	v_addc_co_u32_e32 v10, vcc, 0, v10, vcc
	v_mul_f64 v[5:6], v[5:6], s[4:5]
	v_cmp_gt_i32_e32 vcc, 31, v9
	v_cndmask_b32_e32 v10, v2, v10, vcc
	v_cmp_ne_u32_e32 vcc, 0, v1
	v_cndmask_b32_e64 v1, 0, 1, vcc
	v_lshl_or_b32 v1, v1, 9, v2
	v_cmp_eq_u32_e32 vcc, s10, v9
	v_cndmask_b32_e32 v1, v10, v1, vcc
	v_and_or_b32 v5, v6, s6, v5
	v_lshrrev_b32_e32 v9, 16, v11
	v_cmp_ne_u32_e32 vcc, 0, v5
	v_and_or_b32 v1, v9, s11, v1
	v_cndmask_b32_e64 v5, 0, 1, vcc
	v_lshrrev_b32_e32 v9, 8, v6
	v_bfe_u32 v10, v6, 20, 11
	v_and_or_b32 v5, v9, s7, v5
	v_sub_u32_e32 v11, 0x3f1, v10
	v_or_b32_e32 v9, 0x1000, v5
	v_med3_i32 v11, v11, 0, 13
	v_lshrrev_b32_e32 v12, v11, v9
	v_lshlrev_b32_e32 v11, v11, v12
	v_cmp_ne_u32_e32 vcc, v11, v9
	v_cndmask_b32_e64 v9, 0, 1, vcc
	v_add_u32_e32 v11, 0xfffffc10, v10
	v_or_b32_e32 v9, v12, v9
	v_lshl_or_b32 v10, v11, 12, v5
	v_cmp_gt_i32_e32 vcc, 1, v11
	v_cndmask_b32_e32 v9, v10, v9, vcc
	v_and_b32_e32 v10, 7, v9
	v_cmp_lt_i32_e32 vcc, 5, v10
	v_cmp_eq_u32_e64 s[0:1], 3, v10
	v_lshrrev_b32_e32 v9, 2, v9
	s_or_b64 vcc, s[0:1], vcc
	v_addc_co_u32_e32 v12, vcc, 0, v9, vcc
	ds_read2_b32 v[9:10], v3 offset0:120 offset1:172
	v_cmp_gt_i32_e32 vcc, 31, v11
	v_cndmask_b32_e32 v3, v2, v12, vcc
	v_cmp_ne_u32_e32 vcc, 0, v5
	v_cndmask_b32_e64 v5, 0, 1, vcc
	s_waitcnt lgkmcnt(0)
	v_lshrrev_b32_e32 v13, 16, v9
	v_mul_f16_sdwa v12, v90, v13 dst_sel:DWORD dst_unused:UNUSED_PAD src0_sel:WORD_1 src1_sel:DWORD
	v_fma_f16 v12, v90, v9, v12
	v_cvt_f32_f16_e32 v12, v12
	v_cmp_eq_u32_e32 vcc, s10, v11
	v_lshl_or_b32 v5, v5, 9, v2
	v_cndmask_b32_e32 v3, v3, v5, vcc
	v_cvt_f64_f32_e32 v[11:12], v12
	v_lshrrev_b32_e32 v5, 16, v6
	v_and_or_b32 v3, v5, s11, v3
	v_and_b32_e32 v1, 0xffff, v1
	v_mul_f64 v[5:6], v[11:12], s[4:5]
	v_lshl_or_b32 v1, v3, 16, v1
	v_mov_b32_e32 v3, s12
	v_add_co_u32_e32 v7, vcc, s13, v7
	v_addc_co_u32_e32 v8, vcc, v8, v3, vcc
	global_store_dword v[7:8], v1, off
	v_and_or_b32 v1, v6, s6, v5
	v_cmp_ne_u32_e32 vcc, 0, v1
	v_cndmask_b32_e64 v1, 0, 1, vcc
	v_lshrrev_b32_e32 v3, 8, v6
	v_bfe_u32 v5, v6, 20, 11
	v_and_or_b32 v1, v3, s7, v1
	v_sub_u32_e32 v11, 0x3f1, v5
	v_or_b32_e32 v3, 0x1000, v1
	v_med3_i32 v11, v11, 0, 13
	v_lshrrev_b32_e32 v12, v11, v3
	v_lshlrev_b32_e32 v11, v11, v12
	v_mul_f16_sdwa v9, v90, v9 dst_sel:DWORD dst_unused:UNUSED_PAD src0_sel:WORD_1 src1_sel:DWORD
	v_cmp_ne_u32_e32 vcc, v11, v3
	v_fma_f16 v9, v90, v13, -v9
	v_cndmask_b32_e64 v3, 0, 1, vcc
	v_add_u32_e32 v5, 0xfffffc10, v5
	v_cvt_f32_f16_e32 v9, v9
	v_or_b32_e32 v3, v12, v3
	v_lshl_or_b32 v11, v5, 12, v1
	v_cmp_gt_i32_e32 vcc, 1, v5
	v_cndmask_b32_e32 v3, v11, v3, vcc
	v_and_b32_e32 v11, 7, v3
	v_cmp_lt_i32_e32 vcc, 5, v11
	v_cmp_eq_u32_e64 s[0:1], 3, v11
	v_cvt_f64_f32_e32 v[11:12], v9
	v_lshrrev_b32_e32 v3, 2, v3
	s_or_b64 vcc, s[0:1], vcc
	v_addc_co_u32_e32 v3, vcc, 0, v3, vcc
	v_mul_f64 v[11:12], v[11:12], s[4:5]
	v_cmp_gt_i32_e32 vcc, 31, v5
	v_cndmask_b32_e32 v3, v2, v3, vcc
	v_cmp_ne_u32_e32 vcc, 0, v1
	v_cndmask_b32_e64 v1, 0, 1, vcc
	v_lshl_or_b32 v1, v1, 9, v2
	v_cmp_eq_u32_e32 vcc, s10, v5
	v_cndmask_b32_e32 v1, v3, v1, vcc
	v_lshrrev_b32_e32 v3, 16, v6
	v_and_or_b32 v1, v3, s11, v1
	v_and_or_b32 v3, v12, s6, v11
	v_cmp_ne_u32_e32 vcc, 0, v3
	v_cndmask_b32_e64 v3, 0, 1, vcc
	v_lshrrev_b32_e32 v5, 8, v12
	v_bfe_u32 v6, v12, 20, 11
	v_and_or_b32 v5, v5, s7, v3
	v_sub_u32_e32 v9, 0x3f1, v6
	v_or_b32_e32 v3, 0x1000, v5
	v_med3_i32 v9, v9, 0, 13
	v_lshrrev_b32_e32 v11, v9, v3
	v_lshlrev_b32_e32 v9, v9, v11
	v_cmp_ne_u32_e32 vcc, v9, v3
	v_cndmask_b32_e64 v3, 0, 1, vcc
	v_add_u32_e32 v6, 0xfffffc10, v6
	v_or_b32_e32 v3, v11, v3
	v_lshl_or_b32 v9, v6, 12, v5
	v_cmp_gt_i32_e32 vcc, 1, v6
	v_cndmask_b32_e32 v3, v9, v3, vcc
	v_and_b32_e32 v9, 7, v3
	v_cmp_lt_i32_e32 vcc, 5, v9
	v_cmp_eq_u32_e64 s[0:1], 3, v9
	v_lshrrev_b32_e32 v3, 2, v3
	s_or_b64 vcc, s[0:1], vcc
	v_addc_co_u32_e32 v9, vcc, 0, v3, vcc
	ds_read2_b32 v[3:4], v4 offset0:8 offset1:60
	v_cmp_gt_i32_e32 vcc, 31, v6
	v_cndmask_b32_e32 v9, v2, v9, vcc
	v_cmp_ne_u32_e32 vcc, 0, v5
	v_cndmask_b32_e64 v5, 0, 1, vcc
	s_waitcnt lgkmcnt(0)
	v_lshrrev_b32_e32 v11, 16, v3
	v_mul_f16_sdwa v13, v87, v11 dst_sel:DWORD dst_unused:UNUSED_PAD src0_sel:WORD_1 src1_sel:DWORD
	v_fma_f16 v13, v87, v3, v13
	v_cvt_f32_f16_e32 v13, v13
	v_lshl_or_b32 v5, v5, 9, v2
	v_cmp_eq_u32_e32 vcc, s10, v6
	v_cndmask_b32_e32 v9, v9, v5, vcc
	v_cvt_f64_f32_e32 v[5:6], v13
	v_lshrrev_b32_e32 v12, 16, v12
	v_and_or_b32 v9, v12, s11, v9
	v_and_b32_e32 v1, 0xffff, v1
	v_mul_f64 v[5:6], v[5:6], s[4:5]
	v_lshl_or_b32 v1, v9, 16, v1
	v_mov_b32_e32 v9, s2
	v_add_co_u32_e32 v7, vcc, s3, v7
	v_addc_co_u32_e32 v8, vcc, v8, v9, vcc
	global_store_dword v[7:8], v1, off
	v_and_or_b32 v1, v6, s6, v5
	v_cmp_ne_u32_e32 vcc, 0, v1
	v_cndmask_b32_e64 v1, 0, 1, vcc
	v_lshrrev_b32_e32 v5, 8, v6
	v_bfe_u32 v9, v6, 20, 11
	v_and_or_b32 v1, v5, s7, v1
	v_sub_u32_e32 v12, 0x3f1, v9
	v_or_b32_e32 v5, 0x1000, v1
	v_med3_i32 v12, v12, 0, 13
	v_lshrrev_b32_e32 v13, v12, v5
	v_lshlrev_b32_e32 v12, v12, v13
	v_mul_f16_sdwa v3, v87, v3 dst_sel:DWORD dst_unused:UNUSED_PAD src0_sel:WORD_1 src1_sel:DWORD
	v_cmp_ne_u32_e32 vcc, v12, v5
	v_fma_f16 v3, v87, v11, -v3
	v_cndmask_b32_e64 v5, 0, 1, vcc
	v_add_u32_e32 v9, 0xfffffc10, v9
	v_cvt_f32_f16_e32 v3, v3
	v_or_b32_e32 v5, v13, v5
	v_lshl_or_b32 v12, v9, 12, v1
	v_cmp_gt_i32_e32 vcc, 1, v9
	v_cndmask_b32_e32 v5, v12, v5, vcc
	v_and_b32_e32 v12, 7, v5
	v_cmp_lt_i32_e32 vcc, 5, v12
	v_cmp_eq_u32_e64 s[0:1], 3, v12
	v_cvt_f64_f32_e32 v[11:12], v3
	v_lshrrev_b32_e32 v5, 2, v5
	s_or_b64 vcc, s[0:1], vcc
	v_addc_co_u32_e32 v3, vcc, 0, v5, vcc
	v_mul_f64 v[11:12], v[11:12], s[4:5]
	v_cmp_gt_i32_e32 vcc, 31, v9
	v_cndmask_b32_e32 v3, v2, v3, vcc
	v_cmp_ne_u32_e32 vcc, 0, v1
	v_cndmask_b32_e64 v1, 0, 1, vcc
	v_lshl_or_b32 v1, v1, 9, v2
	v_cmp_eq_u32_e32 vcc, s10, v9
	v_cndmask_b32_e32 v1, v3, v1, vcc
	v_lshrrev_b32_e32 v3, 16, v6
	v_and_or_b32 v1, v3, s11, v1
	v_and_or_b32 v3, v12, s6, v11
	v_cmp_ne_u32_e32 vcc, 0, v3
	v_cndmask_b32_e64 v3, 0, 1, vcc
	v_lshrrev_b32_e32 v5, 8, v12
	v_bfe_u32 v6, v12, 20, 11
	v_and_or_b32 v3, v5, s7, v3
	v_sub_u32_e32 v9, 0x3f1, v6
	v_or_b32_e32 v5, 0x1000, v3
	v_med3_i32 v9, v9, 0, 13
	v_lshrrev_b32_e32 v11, v9, v5
	v_lshlrev_b32_e32 v9, v9, v11
	v_cmp_ne_u32_e32 vcc, v9, v5
	v_cndmask_b32_e64 v5, 0, 1, vcc
	v_add_u32_e32 v6, 0xfffffc10, v6
	v_or_b32_e32 v5, v11, v5
	v_lshl_or_b32 v9, v6, 12, v3
	v_cmp_gt_i32_e32 vcc, 1, v6
	v_cndmask_b32_e32 v5, v9, v5, vcc
	v_and_b32_e32 v9, 7, v5
	v_cmp_lt_i32_e32 vcc, 5, v9
	v_cmp_eq_u32_e64 s[0:1], 3, v9
	v_lshrrev_b32_e32 v9, 16, v10
	v_lshrrev_b32_e32 v5, 2, v5
	s_or_b64 vcc, s[0:1], vcc
	v_mul_f16_sdwa v11, v88, v9 dst_sel:DWORD dst_unused:UNUSED_PAD src0_sel:WORD_1 src1_sel:DWORD
	v_addc_co_u32_e32 v5, vcc, 0, v5, vcc
	v_fma_f16 v11, v88, v10, v11
	v_cmp_gt_i32_e32 vcc, 31, v6
	v_cvt_f32_f16_e32 v11, v11
	v_cndmask_b32_e32 v5, v2, v5, vcc
	v_cmp_ne_u32_e32 vcc, 0, v3
	v_cndmask_b32_e64 v3, 0, 1, vcc
	v_lshl_or_b32 v3, v3, 9, v2
	v_cmp_eq_u32_e32 vcc, s10, v6
	v_cndmask_b32_e32 v3, v5, v3, vcc
	v_cvt_f64_f32_e32 v[5:6], v11
	v_lshrrev_b32_e32 v11, 16, v12
	v_and_or_b32 v3, v11, s11, v3
	v_and_b32_e32 v1, 0xffff, v1
	v_mul_f64 v[5:6], v[5:6], s[4:5]
	v_lshl_or_b32 v1, v3, 16, v1
	v_mov_b32_e32 v3, s12
	v_add_co_u32_e32 v7, vcc, s13, v7
	v_addc_co_u32_e32 v8, vcc, v8, v3, vcc
	global_store_dword v[7:8], v1, off
	v_and_or_b32 v1, v6, s6, v5
	v_cmp_ne_u32_e32 vcc, 0, v1
	v_cndmask_b32_e64 v1, 0, 1, vcc
	v_lshrrev_b32_e32 v3, 8, v6
	v_bfe_u32 v5, v6, 20, 11
	v_mul_f16_sdwa v10, v88, v10 dst_sel:DWORD dst_unused:UNUSED_PAD src0_sel:WORD_1 src1_sel:DWORD
	v_and_or_b32 v1, v3, s7, v1
	v_sub_u32_e32 v11, 0x3f1, v5
	v_fma_f16 v9, v88, v9, -v10
	v_or_b32_e32 v3, 0x1000, v1
	v_med3_i32 v11, v11, 0, 13
	v_cvt_f32_f16_e32 v9, v9
	v_lshrrev_b32_e32 v12, v11, v3
	v_lshlrev_b32_e32 v11, v11, v12
	v_cmp_ne_u32_e32 vcc, v11, v3
	v_cndmask_b32_e64 v3, 0, 1, vcc
	v_add_u32_e32 v5, 0xfffffc10, v5
	v_cvt_f64_f32_e32 v[9:10], v9
	v_or_b32_e32 v3, v12, v3
	v_lshl_or_b32 v11, v5, 12, v1
	v_cmp_gt_i32_e32 vcc, 1, v5
	v_cndmask_b32_e32 v3, v11, v3, vcc
	v_and_b32_e32 v11, 7, v3
	v_cmp_lt_i32_e32 vcc, 5, v11
	v_cmp_eq_u32_e64 s[0:1], 3, v11
	v_mul_f64 v[9:10], v[9:10], s[4:5]
	v_lshrrev_b32_e32 v3, 2, v3
	s_or_b64 vcc, s[0:1], vcc
	v_addc_co_u32_e32 v3, vcc, 0, v3, vcc
	v_cmp_gt_i32_e32 vcc, 31, v5
	v_cndmask_b32_e32 v3, v2, v3, vcc
	v_cmp_ne_u32_e32 vcc, 0, v1
	v_cndmask_b32_e64 v1, 0, 1, vcc
	v_lshl_or_b32 v1, v1, 9, v2
	v_cmp_eq_u32_e32 vcc, s10, v5
	v_cndmask_b32_e32 v1, v3, v1, vcc
	v_lshrrev_b32_e32 v3, 16, v6
	v_and_or_b32 v1, v3, s11, v1
	v_and_or_b32 v3, v10, s6, v9
	v_cmp_ne_u32_e32 vcc, 0, v3
	v_cndmask_b32_e64 v3, 0, 1, vcc
	v_lshrrev_b32_e32 v5, 8, v10
	v_bfe_u32 v6, v10, 20, 11
	v_and_or_b32 v3, v5, s7, v3
	v_sub_u32_e32 v9, 0x3f1, v6
	v_or_b32_e32 v5, 0x1000, v3
	v_med3_i32 v9, v9, 0, 13
	v_lshrrev_b32_e32 v11, v9, v5
	v_lshlrev_b32_e32 v9, v9, v11
	v_cmp_ne_u32_e32 vcc, v9, v5
	v_cndmask_b32_e64 v5, 0, 1, vcc
	v_add_u32_e32 v6, 0xfffffc10, v6
	v_or_b32_e32 v5, v11, v5
	v_lshl_or_b32 v9, v6, 12, v3
	v_cmp_gt_i32_e32 vcc, 1, v6
	v_cndmask_b32_e32 v5, v9, v5, vcc
	v_and_b32_e32 v9, 7, v5
	v_cmp_lt_i32_e32 vcc, 5, v9
	v_cmp_eq_u32_e64 s[0:1], 3, v9
	v_lshrrev_b32_e32 v9, 16, v4
	v_lshrrev_b32_e32 v5, 2, v5
	s_or_b64 vcc, s[0:1], vcc
	v_mul_f16_sdwa v11, v85, v9 dst_sel:DWORD dst_unused:UNUSED_PAD src0_sel:WORD_1 src1_sel:DWORD
	v_addc_co_u32_e32 v5, vcc, 0, v5, vcc
	v_fma_f16 v11, v85, v4, v11
	v_cmp_gt_i32_e32 vcc, 31, v6
	v_cvt_f32_f16_e32 v11, v11
	v_cndmask_b32_e32 v5, v2, v5, vcc
	v_cmp_ne_u32_e32 vcc, 0, v3
	v_cndmask_b32_e64 v3, 0, 1, vcc
	v_lshl_or_b32 v3, v3, 9, v2
	v_cmp_eq_u32_e32 vcc, s10, v6
	v_cndmask_b32_e32 v3, v5, v3, vcc
	v_cvt_f64_f32_e32 v[5:6], v11
	v_lshrrev_b32_e32 v10, 16, v10
	v_and_or_b32 v3, v10, s11, v3
	v_and_b32_e32 v1, 0xffff, v1
	v_mul_f64 v[5:6], v[5:6], s[4:5]
	v_lshl_or_b32 v1, v3, 16, v1
	v_mov_b32_e32 v3, s2
	v_add_co_u32_e32 v7, vcc, s3, v7
	v_addc_co_u32_e32 v8, vcc, v8, v3, vcc
	global_store_dword v[7:8], v1, off
	v_and_or_b32 v1, v6, s6, v5
	v_cmp_ne_u32_e32 vcc, 0, v1
	v_cndmask_b32_e64 v1, 0, 1, vcc
	v_lshrrev_b32_e32 v3, 8, v6
	v_bfe_u32 v5, v6, 20, 11
	v_and_or_b32 v1, v3, s7, v1
	v_sub_u32_e32 v10, 0x3f1, v5
	v_or_b32_e32 v3, 0x1000, v1
	v_med3_i32 v10, v10, 0, 13
	v_lshrrev_b32_e32 v11, v10, v3
	v_mul_f16_sdwa v4, v85, v4 dst_sel:DWORD dst_unused:UNUSED_PAD src0_sel:WORD_1 src1_sel:DWORD
	v_lshlrev_b32_e32 v10, v10, v11
	v_fma_f16 v4, v85, v9, -v4
	v_cmp_ne_u32_e32 vcc, v10, v3
	v_cvt_f32_f16_e32 v4, v4
	v_cndmask_b32_e64 v3, 0, 1, vcc
	v_add_u32_e32 v5, 0xfffffc10, v5
	v_or_b32_e32 v3, v11, v3
	v_lshl_or_b32 v10, v5, 12, v1
	v_cmp_gt_i32_e32 vcc, 1, v5
	v_cndmask_b32_e32 v3, v10, v3, vcc
	v_and_b32_e32 v10, 7, v3
	v_lshrrev_b32_e32 v9, 2, v3
	v_cvt_f64_f32_e32 v[3:4], v4
	v_cmp_lt_i32_e32 vcc, 5, v10
	v_cmp_eq_u32_e64 s[0:1], 3, v10
	s_or_b64 vcc, s[0:1], vcc
	v_mul_f64 v[3:4], v[3:4], s[4:5]
	v_addc_co_u32_e32 v9, vcc, 0, v9, vcc
	v_cmp_gt_i32_e32 vcc, 31, v5
	v_cndmask_b32_e32 v9, v2, v9, vcc
	v_cmp_ne_u32_e32 vcc, 0, v1
	v_cndmask_b32_e64 v1, 0, 1, vcc
	v_lshl_or_b32 v1, v1, 9, v2
	v_cmp_eq_u32_e32 vcc, s10, v5
	v_and_or_b32 v3, v4, s6, v3
	v_cndmask_b32_e32 v1, v9, v1, vcc
	v_lshrrev_b32_e32 v5, 16, v6
	v_cmp_ne_u32_e32 vcc, 0, v3
	v_and_or_b32 v1, v5, s11, v1
	v_cndmask_b32_e64 v3, 0, 1, vcc
	v_lshrrev_b32_e32 v5, 8, v4
	v_bfe_u32 v6, v4, 20, 11
	v_and_or_b32 v3, v5, s7, v3
	v_sub_u32_e32 v9, 0x3f1, v6
	v_or_b32_e32 v5, 0x1000, v3
	v_med3_i32 v9, v9, 0, 13
	v_lshrrev_b32_e32 v10, v9, v5
	v_lshlrev_b32_e32 v9, v9, v10
	v_cmp_ne_u32_e32 vcc, v9, v5
	v_cndmask_b32_e64 v5, 0, 1, vcc
	v_add_u32_e32 v9, 0xfffffc10, v6
	v_or_b32_e32 v5, v10, v5
	v_lshl_or_b32 v6, v9, 12, v3
	v_cmp_gt_i32_e32 vcc, 1, v9
	v_cndmask_b32_e32 v5, v6, v5, vcc
	v_and_b32_e32 v6, 7, v5
	v_cmp_lt_i32_e32 vcc, 5, v6
	v_cmp_eq_u32_e64 s[0:1], 3, v6
	v_lshrrev_b32_e32 v5, 2, v5
	s_or_b64 vcc, s[0:1], vcc
	v_addc_co_u32_e32 v10, vcc, 0, v5, vcc
	v_add_u32_e32 v5, 0x1200, v82
	ds_read2_b32 v[5:6], v5 offset0:96 offset1:148
	v_cmp_gt_i32_e32 vcc, 31, v9
	v_cndmask_b32_e32 v10, v2, v10, vcc
	v_cmp_ne_u32_e32 vcc, 0, v3
	v_cndmask_b32_e64 v3, 0, 1, vcc
	s_waitcnt lgkmcnt(0)
	v_lshrrev_b32_e32 v11, 16, v5
	v_mul_f16_sdwa v12, v86, v11 dst_sel:DWORD dst_unused:UNUSED_PAD src0_sel:WORD_1 src1_sel:DWORD
	v_fma_f16 v12, v86, v5, v12
	v_cvt_f32_f16_e32 v12, v12
	v_lshl_or_b32 v3, v3, 9, v2
	v_cmp_eq_u32_e32 vcc, s10, v9
	v_cndmask_b32_e32 v3, v10, v3, vcc
	v_cvt_f64_f32_e32 v[9:10], v12
	v_lshrrev_b32_e32 v4, 16, v4
	v_and_or_b32 v12, v4, s11, v3
	v_and_b32_e32 v1, 0xffff, v1
	v_mul_f64 v[3:4], v[9:10], s[4:5]
	v_mov_b32_e32 v9, s12
	v_add_co_u32_e32 v7, vcc, s13, v7
	v_lshl_or_b32 v1, v12, 16, v1
	v_addc_co_u32_e32 v8, vcc, v8, v9, vcc
	global_store_dword v[7:8], v1, off
	v_and_or_b32 v1, v4, s6, v3
	v_cmp_ne_u32_e32 vcc, 0, v1
	v_cndmask_b32_e64 v1, 0, 1, vcc
	v_lshrrev_b32_e32 v3, 8, v4
	v_bfe_u32 v9, v4, 20, 11
	v_and_or_b32 v1, v3, s7, v1
	v_sub_u32_e32 v10, 0x3f1, v9
	v_or_b32_e32 v3, 0x1000, v1
	v_med3_i32 v10, v10, 0, 13
	v_lshrrev_b32_e32 v12, v10, v3
	v_lshlrev_b32_e32 v10, v10, v12
	v_cmp_ne_u32_e32 vcc, v10, v3
	v_mul_f16_sdwa v5, v86, v5 dst_sel:DWORD dst_unused:UNUSED_PAD src0_sel:WORD_1 src1_sel:DWORD
	v_cndmask_b32_e64 v3, 0, 1, vcc
	v_fma_f16 v5, v86, v11, -v5
	v_or_b32_e32 v3, v12, v3
	v_add_u32_e32 v12, 0xfffffc10, v9
	v_cvt_f32_f16_e32 v5, v5
	v_lshl_or_b32 v9, v12, 12, v1
	v_cmp_gt_i32_e32 vcc, 1, v12
	v_cndmask_b32_e32 v3, v9, v3, vcc
	v_and_b32_e32 v9, 7, v3
	v_cmp_lt_i32_e32 vcc, 5, v9
	v_cmp_eq_u32_e64 s[0:1], 3, v9
	v_cvt_f64_f32_e32 v[9:10], v5
	v_lshrrev_b32_e32 v3, 2, v3
	s_or_b64 vcc, s[0:1], vcc
	v_addc_co_u32_e32 v3, vcc, 0, v3, vcc
	v_mul_f64 v[9:10], v[9:10], s[4:5]
	v_cmp_gt_i32_e32 vcc, 31, v12
	v_cndmask_b32_e32 v3, v2, v3, vcc
	v_cmp_ne_u32_e32 vcc, 0, v1
	v_cndmask_b32_e64 v1, 0, 1, vcc
	v_lshl_or_b32 v1, v1, 9, v2
	v_cmp_eq_u32_e32 vcc, s10, v12
	v_cndmask_b32_e32 v1, v3, v1, vcc
	v_lshrrev_b32_e32 v3, 16, v4
	v_and_or_b32 v1, v3, s11, v1
	v_and_or_b32 v3, v10, s6, v9
	v_cmp_ne_u32_e32 vcc, 0, v3
	v_cndmask_b32_e64 v3, 0, 1, vcc
	v_lshrrev_b32_e32 v4, 8, v10
	v_bfe_u32 v5, v10, 20, 11
	v_and_or_b32 v3, v4, s7, v3
	v_sub_u32_e32 v9, 0x3f1, v5
	v_or_b32_e32 v4, 0x1000, v3
	v_med3_i32 v9, v9, 0, 13
	v_lshrrev_b32_e32 v11, v9, v4
	v_lshlrev_b32_e32 v9, v9, v11
	v_cmp_ne_u32_e32 vcc, v9, v4
	v_cndmask_b32_e64 v4, 0, 1, vcc
	v_add_u32_e32 v5, 0xfffffc10, v5
	v_or_b32_e32 v4, v11, v4
	v_lshl_or_b32 v9, v5, 12, v3
	v_cmp_gt_i32_e32 vcc, 1, v5
	v_cndmask_b32_e32 v4, v9, v4, vcc
	v_and_b32_e32 v9, 7, v4
	v_cmp_lt_i32_e32 vcc, 5, v9
	v_cmp_eq_u32_e64 s[0:1], 3, v9
	v_lshrrev_b32_e32 v9, 16, v0
	v_lshrrev_b32_e32 v4, 2, v4
	s_or_b64 vcc, s[0:1], vcc
	v_mul_f16_sdwa v11, v83, v9 dst_sel:DWORD dst_unused:UNUSED_PAD src0_sel:WORD_1 src1_sel:DWORD
	v_addc_co_u32_e32 v4, vcc, 0, v4, vcc
	v_fma_f16 v11, v83, v0, v11
	v_cmp_gt_i32_e32 vcc, 31, v5
	v_cvt_f32_f16_e32 v11, v11
	v_cndmask_b32_e32 v4, v2, v4, vcc
	v_cmp_ne_u32_e32 vcc, 0, v3
	v_cndmask_b32_e64 v3, 0, 1, vcc
	v_lshl_or_b32 v3, v3, 9, v2
	v_cmp_eq_u32_e32 vcc, s10, v5
	v_cndmask_b32_e32 v5, v4, v3, vcc
	v_cvt_f64_f32_e32 v[3:4], v11
	v_lshrrev_b32_e32 v10, 16, v10
	v_and_or_b32 v5, v10, s11, v5
	v_and_b32_e32 v1, 0xffff, v1
	v_mul_f64 v[3:4], v[3:4], s[4:5]
	v_lshl_or_b32 v1, v5, 16, v1
	v_mov_b32_e32 v5, s2
	v_add_co_u32_e32 v7, vcc, s3, v7
	v_addc_co_u32_e32 v8, vcc, v8, v5, vcc
	global_store_dword v[7:8], v1, off
	v_and_or_b32 v1, v4, s6, v3
	v_cmp_ne_u32_e32 vcc, 0, v1
	v_cndmask_b32_e64 v1, 0, 1, vcc
	v_lshrrev_b32_e32 v3, 8, v4
	v_bfe_u32 v5, v4, 20, 11
	v_and_or_b32 v3, v3, s7, v1
	v_sub_u32_e32 v10, 0x3f1, v5
	v_or_b32_e32 v1, 0x1000, v3
	v_med3_i32 v10, v10, 0, 13
	v_lshrrev_b32_e32 v11, v10, v1
	v_mul_f16_sdwa v0, v83, v0 dst_sel:DWORD dst_unused:UNUSED_PAD src0_sel:WORD_1 src1_sel:DWORD
	v_lshlrev_b32_e32 v10, v10, v11
	v_fma_f16 v0, v83, v9, -v0
	v_cmp_ne_u32_e32 vcc, v10, v1
	v_cvt_f32_f16_e32 v0, v0
	v_cndmask_b32_e64 v1, 0, 1, vcc
	v_add_u32_e32 v5, 0xfffffc10, v5
	v_or_b32_e32 v1, v11, v1
	v_lshl_or_b32 v10, v5, 12, v3
	v_cmp_gt_i32_e32 vcc, 1, v5
	v_cndmask_b32_e32 v1, v10, v1, vcc
	v_and_b32_e32 v10, 7, v1
	v_lshrrev_b32_e32 v9, 2, v1
	v_cvt_f64_f32_e32 v[0:1], v0
	v_cmp_lt_i32_e32 vcc, 5, v10
	v_cmp_eq_u32_e64 s[0:1], 3, v10
	s_or_b64 vcc, s[0:1], vcc
	v_mul_f64 v[0:1], v[0:1], s[4:5]
	v_addc_co_u32_e32 v9, vcc, 0, v9, vcc
	v_cmp_gt_i32_e32 vcc, 31, v5
	v_cndmask_b32_e32 v9, v2, v9, vcc
	v_cmp_ne_u32_e32 vcc, 0, v3
	v_cndmask_b32_e64 v3, 0, 1, vcc
	v_lshl_or_b32 v3, v3, 9, v2
	v_cmp_eq_u32_e32 vcc, s10, v5
	v_and_or_b32 v0, v1, s6, v0
	v_cndmask_b32_e32 v3, v9, v3, vcc
	v_lshrrev_b32_e32 v4, 16, v4
	v_cmp_ne_u32_e32 vcc, 0, v0
	v_and_or_b32 v5, v4, s11, v3
	v_cndmask_b32_e64 v0, 0, 1, vcc
	v_lshrrev_b32_e32 v3, 8, v1
	v_bfe_u32 v4, v1, 20, 11
	v_and_or_b32 v0, v3, s7, v0
	v_sub_u32_e32 v9, 0x3f1, v4
	v_or_b32_e32 v3, 0x1000, v0
	v_med3_i32 v9, v9, 0, 13
	v_lshrrev_b32_e32 v10, v9, v3
	v_lshlrev_b32_e32 v9, v9, v10
	v_cmp_ne_u32_e32 vcc, v9, v3
	v_cndmask_b32_e64 v3, 0, 1, vcc
	v_add_u32_e32 v4, 0xfffffc10, v4
	v_or_b32_e32 v3, v10, v3
	v_lshl_or_b32 v9, v4, 12, v0
	v_cmp_gt_i32_e32 vcc, 1, v4
	v_cndmask_b32_e32 v3, v9, v3, vcc
	v_and_b32_e32 v9, 7, v3
	v_cmp_lt_i32_e32 vcc, 5, v9
	v_cmp_eq_u32_e64 s[0:1], 3, v9
	v_lshrrev_b32_e32 v9, 16, v6
	v_lshrrev_b32_e32 v3, 2, v3
	s_or_b64 vcc, s[0:1], vcc
	v_mul_f16_sdwa v10, v84, v9 dst_sel:DWORD dst_unused:UNUSED_PAD src0_sel:WORD_1 src1_sel:DWORD
	v_addc_co_u32_e32 v3, vcc, 0, v3, vcc
	v_fma_f16 v10, v84, v6, v10
	v_cmp_gt_i32_e32 vcc, 31, v4
	v_cvt_f32_f16_e32 v10, v10
	v_cndmask_b32_e32 v3, v2, v3, vcc
	v_cmp_ne_u32_e32 vcc, 0, v0
	v_cndmask_b32_e64 v0, 0, 1, vcc
	v_lshl_or_b32 v0, v0, 9, v2
	v_cmp_eq_u32_e32 vcc, s10, v4
	v_cndmask_b32_e32 v0, v3, v0, vcc
	v_cvt_f64_f32_e32 v[3:4], v10
	v_lshrrev_b32_e32 v1, 16, v1
	v_and_or_b32 v10, v1, s11, v0
	v_and_b32_e32 v5, 0xffff, v5
	v_mul_f64 v[0:1], v[3:4], s[4:5]
	v_mov_b32_e32 v4, s12
	v_add_co_u32_e32 v3, vcc, s13, v7
	v_addc_co_u32_e32 v4, vcc, v8, v4, vcc
	v_lshl_or_b32 v5, v10, 16, v5
	global_store_dword v[3:4], v5, off
	v_and_or_b32 v0, v1, s6, v0
	v_cmp_ne_u32_e32 vcc, 0, v0
	v_cndmask_b32_e64 v0, 0, 1, vcc
	v_lshrrev_b32_e32 v5, 8, v1
	v_bfe_u32 v7, v1, 20, 11
	v_and_or_b32 v0, v5, s7, v0
	v_sub_u32_e32 v8, 0x3f1, v7
	v_or_b32_e32 v5, 0x1000, v0
	v_med3_i32 v8, v8, 0, 13
	v_lshrrev_b32_e32 v10, v8, v5
	v_lshlrev_b32_e32 v8, v8, v10
	v_mul_f16_sdwa v6, v84, v6 dst_sel:DWORD dst_unused:UNUSED_PAD src0_sel:WORD_1 src1_sel:DWORD
	v_cmp_ne_u32_e32 vcc, v8, v5
	v_fma_f16 v6, v84, v9, -v6
	v_cndmask_b32_e64 v5, 0, 1, vcc
	v_add_u32_e32 v7, 0xfffffc10, v7
	v_cvt_f32_f16_e32 v6, v6
	v_or_b32_e32 v5, v10, v5
	v_lshl_or_b32 v8, v7, 12, v0
	v_cmp_gt_i32_e32 vcc, 1, v7
	v_cndmask_b32_e32 v5, v8, v5, vcc
	v_and_b32_e32 v8, 7, v5
	v_cmp_lt_i32_e32 vcc, 5, v8
	v_cmp_eq_u32_e64 s[0:1], 3, v8
	v_lshrrev_b32_e32 v8, 2, v5
	v_cvt_f64_f32_e32 v[5:6], v6
	s_or_b64 vcc, s[0:1], vcc
	v_addc_co_u32_e32 v8, vcc, 0, v8, vcc
	v_mul_f64 v[5:6], v[5:6], s[4:5]
	v_cmp_gt_i32_e32 vcc, 31, v7
	v_cndmask_b32_e32 v8, v2, v8, vcc
	v_cmp_ne_u32_e32 vcc, 0, v0
	v_cndmask_b32_e64 v0, 0, 1, vcc
	v_lshl_or_b32 v0, v0, 9, v2
	v_cmp_eq_u32_e32 vcc, s10, v7
	v_cndmask_b32_e32 v0, v8, v0, vcc
	v_lshrrev_b32_e32 v1, 16, v1
	v_and_or_b32 v0, v1, s11, v0
	v_and_or_b32 v1, v6, s6, v5
	v_cmp_ne_u32_e32 vcc, 0, v1
	v_cndmask_b32_e64 v1, 0, 1, vcc
	v_lshrrev_b32_e32 v5, 8, v6
	v_bfe_u32 v7, v6, 20, 11
	v_and_or_b32 v1, v5, s7, v1
	v_sub_u32_e32 v8, 0x3f1, v7
	v_or_b32_e32 v5, 0x1000, v1
	v_med3_i32 v8, v8, 0, 13
	v_lshrrev_b32_e32 v9, v8, v5
	v_lshlrev_b32_e32 v8, v8, v9
	v_cmp_ne_u32_e32 vcc, v8, v5
	v_cndmask_b32_e64 v5, 0, 1, vcc
	v_add_u32_e32 v7, 0xfffffc10, v7
	v_or_b32_e32 v5, v9, v5
	v_lshl_or_b32 v8, v7, 12, v1
	v_cmp_gt_i32_e32 vcc, 1, v7
	v_cndmask_b32_e32 v5, v8, v5, vcc
	v_and_b32_e32 v8, 7, v5
	v_cmp_lt_i32_e32 vcc, 5, v8
	v_cmp_eq_u32_e64 s[0:1], 3, v8
	v_lshrrev_b32_e32 v5, 2, v5
	s_or_b64 vcc, s[0:1], vcc
	v_addc_co_u32_e32 v5, vcc, 0, v5, vcc
	v_cmp_gt_i32_e32 vcc, 31, v7
	v_cndmask_b32_e32 v5, v2, v5, vcc
	v_cmp_ne_u32_e32 vcc, 0, v1
	v_cndmask_b32_e64 v1, 0, 1, vcc
	v_lshl_or_b32 v1, v1, 9, v2
	v_cmp_eq_u32_e32 vcc, s10, v7
	v_cndmask_b32_e32 v1, v5, v1, vcc
	v_lshrrev_b32_e32 v2, 16, v6
	v_and_or_b32 v1, v2, s11, v1
	v_and_b32_e32 v0, 0xffff, v0
	v_lshl_or_b32 v2, v1, 16, v0
	v_mov_b32_e32 v1, s2
	v_add_co_u32_e32 v0, vcc, s3, v3
	v_addc_co_u32_e32 v1, vcc, v4, v1, vcc
	global_store_dword v[0:1], v2, off
.LBB0_10:
	s_endpgm
	.section	.rodata,"a",@progbits
	.p2align	6, 0x0
	.amdhsa_kernel bluestein_single_back_len1352_dim1_half_op_CI_CI
		.amdhsa_group_segment_fixed_size 5408
		.amdhsa_private_segment_fixed_size 0
		.amdhsa_kernarg_size 104
		.amdhsa_user_sgpr_count 6
		.amdhsa_user_sgpr_private_segment_buffer 1
		.amdhsa_user_sgpr_dispatch_ptr 0
		.amdhsa_user_sgpr_queue_ptr 0
		.amdhsa_user_sgpr_kernarg_segment_ptr 1
		.amdhsa_user_sgpr_dispatch_id 0
		.amdhsa_user_sgpr_flat_scratch_init 0
		.amdhsa_user_sgpr_private_segment_size 0
		.amdhsa_uses_dynamic_stack 0
		.amdhsa_system_sgpr_private_segment_wavefront_offset 0
		.amdhsa_system_sgpr_workgroup_id_x 1
		.amdhsa_system_sgpr_workgroup_id_y 0
		.amdhsa_system_sgpr_workgroup_id_z 0
		.amdhsa_system_sgpr_workgroup_info 0
		.amdhsa_system_vgpr_workitem_id 0
		.amdhsa_next_free_vgpr 207
		.amdhsa_next_free_sgpr 26
		.amdhsa_reserve_vcc 1
		.amdhsa_reserve_flat_scratch 0
		.amdhsa_float_round_mode_32 0
		.amdhsa_float_round_mode_16_64 0
		.amdhsa_float_denorm_mode_32 3
		.amdhsa_float_denorm_mode_16_64 3
		.amdhsa_dx10_clamp 1
		.amdhsa_ieee_mode 1
		.amdhsa_fp16_overflow 0
		.amdhsa_exception_fp_ieee_invalid_op 0
		.amdhsa_exception_fp_denorm_src 0
		.amdhsa_exception_fp_ieee_div_zero 0
		.amdhsa_exception_fp_ieee_overflow 0
		.amdhsa_exception_fp_ieee_underflow 0
		.amdhsa_exception_fp_ieee_inexact 0
		.amdhsa_exception_int_div_zero 0
	.end_amdhsa_kernel
	.text
.Lfunc_end0:
	.size	bluestein_single_back_len1352_dim1_half_op_CI_CI, .Lfunc_end0-bluestein_single_back_len1352_dim1_half_op_CI_CI
                                        ; -- End function
	.section	.AMDGPU.csdata,"",@progbits
; Kernel info:
; codeLenInByte = 49048
; NumSgprs: 30
; NumVgprs: 207
; ScratchSize: 0
; MemoryBound: 0
; FloatMode: 240
; IeeeMode: 1
; LDSByteSize: 5408 bytes/workgroup (compile time only)
; SGPRBlocks: 3
; VGPRBlocks: 51
; NumSGPRsForWavesPerEU: 30
; NumVGPRsForWavesPerEU: 207
; Occupancy: 1
; WaveLimiterHint : 1
; COMPUTE_PGM_RSRC2:SCRATCH_EN: 0
; COMPUTE_PGM_RSRC2:USER_SGPR: 6
; COMPUTE_PGM_RSRC2:TRAP_HANDLER: 0
; COMPUTE_PGM_RSRC2:TGID_X_EN: 1
; COMPUTE_PGM_RSRC2:TGID_Y_EN: 0
; COMPUTE_PGM_RSRC2:TGID_Z_EN: 0
; COMPUTE_PGM_RSRC2:TIDIG_COMP_CNT: 0
	.type	__hip_cuid_1a83c9b7c8800260,@object ; @__hip_cuid_1a83c9b7c8800260
	.section	.bss,"aw",@nobits
	.globl	__hip_cuid_1a83c9b7c8800260
__hip_cuid_1a83c9b7c8800260:
	.byte	0                               ; 0x0
	.size	__hip_cuid_1a83c9b7c8800260, 1

	.ident	"AMD clang version 19.0.0git (https://github.com/RadeonOpenCompute/llvm-project roc-6.4.0 25133 c7fe45cf4b819c5991fe208aaa96edf142730f1d)"
	.section	".note.GNU-stack","",@progbits
	.addrsig
	.addrsig_sym __hip_cuid_1a83c9b7c8800260
	.amdgpu_metadata
---
amdhsa.kernels:
  - .args:
      - .actual_access:  read_only
        .address_space:  global
        .offset:         0
        .size:           8
        .value_kind:     global_buffer
      - .actual_access:  read_only
        .address_space:  global
        .offset:         8
        .size:           8
        .value_kind:     global_buffer
      - .actual_access:  read_only
        .address_space:  global
        .offset:         16
        .size:           8
        .value_kind:     global_buffer
      - .actual_access:  read_only
        .address_space:  global
        .offset:         24
        .size:           8
        .value_kind:     global_buffer
      - .actual_access:  read_only
        .address_space:  global
        .offset:         32
        .size:           8
        .value_kind:     global_buffer
      - .offset:         40
        .size:           8
        .value_kind:     by_value
      - .address_space:  global
        .offset:         48
        .size:           8
        .value_kind:     global_buffer
      - .address_space:  global
        .offset:         56
        .size:           8
        .value_kind:     global_buffer
      - .address_space:  global
        .offset:         64
        .size:           8
        .value_kind:     global_buffer
      - .address_space:  global
        .offset:         72
        .size:           8
        .value_kind:     global_buffer
      - .offset:         80
        .size:           4
        .value_kind:     by_value
      - .address_space:  global
        .offset:         88
        .size:           8
        .value_kind:     global_buffer
      - .address_space:  global
        .offset:         96
        .size:           8
        .value_kind:     global_buffer
    .group_segment_fixed_size: 5408
    .kernarg_segment_align: 8
    .kernarg_segment_size: 104
    .language:       OpenCL C
    .language_version:
      - 2
      - 0
    .max_flat_workgroup_size: 52
    .name:           bluestein_single_back_len1352_dim1_half_op_CI_CI
    .private_segment_fixed_size: 0
    .sgpr_count:     30
    .sgpr_spill_count: 0
    .symbol:         bluestein_single_back_len1352_dim1_half_op_CI_CI.kd
    .uniform_work_group_size: 1
    .uses_dynamic_stack: false
    .vgpr_count:     207
    .vgpr_spill_count: 0
    .wavefront_size: 64
amdhsa.target:   amdgcn-amd-amdhsa--gfx906
amdhsa.version:
  - 1
  - 2
...

	.end_amdgpu_metadata
